;; amdgpu-corpus repo=ROCm/rocFFT kind=compiled arch=gfx1201 opt=O3
	.text
	.amdgcn_target "amdgcn-amd-amdhsa--gfx1201"
	.amdhsa_code_object_version 6
	.protected	fft_rtc_back_len3750_factors_3_5_5_10_5_wgs_125_tpt_125_halfLds_dp_ip_CI_sbrr_dirReg ; -- Begin function fft_rtc_back_len3750_factors_3_5_5_10_5_wgs_125_tpt_125_halfLds_dp_ip_CI_sbrr_dirReg
	.globl	fft_rtc_back_len3750_factors_3_5_5_10_5_wgs_125_tpt_125_halfLds_dp_ip_CI_sbrr_dirReg
	.p2align	8
	.type	fft_rtc_back_len3750_factors_3_5_5_10_5_wgs_125_tpt_125_halfLds_dp_ip_CI_sbrr_dirReg,@function
fft_rtc_back_len3750_factors_3_5_5_10_5_wgs_125_tpt_125_halfLds_dp_ip_CI_sbrr_dirReg: ; @fft_rtc_back_len3750_factors_3_5_5_10_5_wgs_125_tpt_125_halfLds_dp_ip_CI_sbrr_dirReg
; %bb.0:
	s_clause 0x2
	s_load_b64 s[12:13], s[0:1], 0x18
	s_load_b128 s[4:7], s[0:1], 0x0
	s_load_b64 s[10:11], s[0:1], 0x50
	v_mul_u32_u24_e32 v1, 0x20d, v0
	v_mov_b32_e32 v3, 0
	s_delay_alu instid0(VALU_DEP_2) | instskip(NEXT) | instid1(VALU_DEP_1)
	v_lshrrev_b32_e32 v1, 16, v1
	v_add_nc_u32_e32 v5, ttmp9, v1
	v_mov_b32_e32 v1, 0
	v_mov_b32_e32 v2, 0
	;; [unrolled: 1-line block ×3, first 2 shown]
	s_wait_kmcnt 0x0
	s_load_b64 s[8:9], s[12:13], 0x0
	v_cmp_lt_u64_e64 s2, s[6:7], 2
	s_delay_alu instid0(VALU_DEP_1)
	s_and_b32 vcc_lo, exec_lo, s2
	s_cbranch_vccnz .LBB0_8
; %bb.1:
	s_load_b64 s[2:3], s[0:1], 0x10
	v_mov_b32_e32 v1, 0
	v_mov_b32_e32 v2, 0
	s_add_nc_u64 s[14:15], s[12:13], 8
	s_mov_b64 s[16:17], 1
	s_wait_kmcnt 0x0
	s_add_nc_u64 s[18:19], s[2:3], 8
	s_mov_b32 s3, 0
.LBB0_2:                                ; =>This Inner Loop Header: Depth=1
	s_load_b64 s[20:21], s[18:19], 0x0
                                        ; implicit-def: $vgpr7_vgpr8
	s_mov_b32 s2, exec_lo
	s_wait_kmcnt 0x0
	v_or_b32_e32 v4, s21, v6
	s_delay_alu instid0(VALU_DEP_1)
	v_cmpx_ne_u64_e32 0, v[3:4]
	s_wait_alu 0xfffe
	s_xor_b32 s22, exec_lo, s2
	s_cbranch_execz .LBB0_4
; %bb.3:                                ;   in Loop: Header=BB0_2 Depth=1
	s_cvt_f32_u32 s2, s20
	s_cvt_f32_u32 s23, s21
	s_sub_nc_u64 s[26:27], 0, s[20:21]
	s_wait_alu 0xfffe
	s_delay_alu instid0(SALU_CYCLE_1) | instskip(SKIP_1) | instid1(SALU_CYCLE_2)
	s_fmamk_f32 s2, s23, 0x4f800000, s2
	s_wait_alu 0xfffe
	v_s_rcp_f32 s2, s2
	s_delay_alu instid0(TRANS32_DEP_1) | instskip(SKIP_1) | instid1(SALU_CYCLE_2)
	s_mul_f32 s2, s2, 0x5f7ffffc
	s_wait_alu 0xfffe
	s_mul_f32 s23, s2, 0x2f800000
	s_wait_alu 0xfffe
	s_delay_alu instid0(SALU_CYCLE_2) | instskip(SKIP_1) | instid1(SALU_CYCLE_2)
	s_trunc_f32 s23, s23
	s_wait_alu 0xfffe
	s_fmamk_f32 s2, s23, 0xcf800000, s2
	s_cvt_u32_f32 s25, s23
	s_wait_alu 0xfffe
	s_delay_alu instid0(SALU_CYCLE_1) | instskip(SKIP_1) | instid1(SALU_CYCLE_2)
	s_cvt_u32_f32 s24, s2
	s_wait_alu 0xfffe
	s_mul_u64 s[28:29], s[26:27], s[24:25]
	s_wait_alu 0xfffe
	s_mul_hi_u32 s31, s24, s29
	s_mul_i32 s30, s24, s29
	s_mul_hi_u32 s2, s24, s28
	s_mul_i32 s33, s25, s28
	s_wait_alu 0xfffe
	s_add_nc_u64 s[30:31], s[2:3], s[30:31]
	s_mul_hi_u32 s23, s25, s28
	s_mul_hi_u32 s34, s25, s29
	s_add_co_u32 s2, s30, s33
	s_wait_alu 0xfffe
	s_add_co_ci_u32 s2, s31, s23
	s_mul_i32 s28, s25, s29
	s_add_co_ci_u32 s29, s34, 0
	s_wait_alu 0xfffe
	s_add_nc_u64 s[28:29], s[2:3], s[28:29]
	s_wait_alu 0xfffe
	v_add_co_u32 v4, s2, s24, s28
	s_delay_alu instid0(VALU_DEP_1) | instskip(SKIP_1) | instid1(VALU_DEP_1)
	s_cmp_lg_u32 s2, 0
	s_add_co_ci_u32 s25, s25, s29
	v_readfirstlane_b32 s24, v4
	s_wait_alu 0xfffe
	s_delay_alu instid0(VALU_DEP_1)
	s_mul_u64 s[26:27], s[26:27], s[24:25]
	s_wait_alu 0xfffe
	s_mul_hi_u32 s29, s24, s27
	s_mul_i32 s28, s24, s27
	s_mul_hi_u32 s2, s24, s26
	s_mul_i32 s30, s25, s26
	s_wait_alu 0xfffe
	s_add_nc_u64 s[28:29], s[2:3], s[28:29]
	s_mul_hi_u32 s23, s25, s26
	s_mul_hi_u32 s24, s25, s27
	s_wait_alu 0xfffe
	s_add_co_u32 s2, s28, s30
	s_add_co_ci_u32 s2, s29, s23
	s_mul_i32 s26, s25, s27
	s_add_co_ci_u32 s27, s24, 0
	s_wait_alu 0xfffe
	s_add_nc_u64 s[26:27], s[2:3], s[26:27]
	s_wait_alu 0xfffe
	v_add_co_u32 v4, s2, v4, s26
	s_delay_alu instid0(VALU_DEP_1) | instskip(SKIP_1) | instid1(VALU_DEP_1)
	s_cmp_lg_u32 s2, 0
	s_add_co_ci_u32 s2, s25, s27
	v_mul_hi_u32 v13, v5, v4
	s_wait_alu 0xfffe
	v_mad_co_u64_u32 v[7:8], null, v5, s2, 0
	v_mad_co_u64_u32 v[9:10], null, v6, v4, 0
	;; [unrolled: 1-line block ×3, first 2 shown]
	s_delay_alu instid0(VALU_DEP_3) | instskip(SKIP_1) | instid1(VALU_DEP_4)
	v_add_co_u32 v4, vcc_lo, v13, v7
	s_wait_alu 0xfffd
	v_add_co_ci_u32_e32 v7, vcc_lo, 0, v8, vcc_lo
	s_delay_alu instid0(VALU_DEP_2) | instskip(SKIP_1) | instid1(VALU_DEP_2)
	v_add_co_u32 v4, vcc_lo, v4, v9
	s_wait_alu 0xfffd
	v_add_co_ci_u32_e32 v4, vcc_lo, v7, v10, vcc_lo
	s_wait_alu 0xfffd
	v_add_co_ci_u32_e32 v7, vcc_lo, 0, v12, vcc_lo
	s_delay_alu instid0(VALU_DEP_2) | instskip(SKIP_1) | instid1(VALU_DEP_2)
	v_add_co_u32 v4, vcc_lo, v4, v11
	s_wait_alu 0xfffd
	v_add_co_ci_u32_e32 v9, vcc_lo, 0, v7, vcc_lo
	s_delay_alu instid0(VALU_DEP_2) | instskip(SKIP_1) | instid1(VALU_DEP_3)
	v_mul_lo_u32 v10, s21, v4
	v_mad_co_u64_u32 v[7:8], null, s20, v4, 0
	v_mul_lo_u32 v11, s20, v9
	s_delay_alu instid0(VALU_DEP_2) | instskip(NEXT) | instid1(VALU_DEP_2)
	v_sub_co_u32 v7, vcc_lo, v5, v7
	v_add3_u32 v8, v8, v11, v10
	s_delay_alu instid0(VALU_DEP_1) | instskip(SKIP_1) | instid1(VALU_DEP_1)
	v_sub_nc_u32_e32 v10, v6, v8
	s_wait_alu 0xfffd
	v_subrev_co_ci_u32_e64 v10, s2, s21, v10, vcc_lo
	v_add_co_u32 v11, s2, v4, 2
	s_wait_alu 0xf1ff
	v_add_co_ci_u32_e64 v12, s2, 0, v9, s2
	v_sub_co_u32 v13, s2, v7, s20
	v_sub_co_ci_u32_e32 v8, vcc_lo, v6, v8, vcc_lo
	s_wait_alu 0xf1ff
	v_subrev_co_ci_u32_e64 v10, s2, 0, v10, s2
	s_delay_alu instid0(VALU_DEP_3) | instskip(NEXT) | instid1(VALU_DEP_3)
	v_cmp_le_u32_e32 vcc_lo, s20, v13
	v_cmp_eq_u32_e64 s2, s21, v8
	s_wait_alu 0xfffd
	v_cndmask_b32_e64 v13, 0, -1, vcc_lo
	v_cmp_le_u32_e32 vcc_lo, s21, v10
	s_wait_alu 0xfffd
	v_cndmask_b32_e64 v14, 0, -1, vcc_lo
	v_cmp_le_u32_e32 vcc_lo, s20, v7
	;; [unrolled: 3-line block ×3, first 2 shown]
	s_wait_alu 0xfffd
	v_cndmask_b32_e64 v15, 0, -1, vcc_lo
	v_cmp_eq_u32_e32 vcc_lo, s21, v10
	s_wait_alu 0xf1ff
	s_delay_alu instid0(VALU_DEP_2)
	v_cndmask_b32_e64 v7, v15, v7, s2
	s_wait_alu 0xfffd
	v_cndmask_b32_e32 v10, v14, v13, vcc_lo
	v_add_co_u32 v13, vcc_lo, v4, 1
	s_wait_alu 0xfffd
	v_add_co_ci_u32_e32 v14, vcc_lo, 0, v9, vcc_lo
	s_delay_alu instid0(VALU_DEP_3) | instskip(SKIP_2) | instid1(VALU_DEP_3)
	v_cmp_ne_u32_e32 vcc_lo, 0, v10
	s_wait_alu 0xfffd
	v_cndmask_b32_e32 v10, v13, v11, vcc_lo
	v_cndmask_b32_e32 v8, v14, v12, vcc_lo
	v_cmp_ne_u32_e32 vcc_lo, 0, v7
	s_wait_alu 0xfffd
	s_delay_alu instid0(VALU_DEP_2)
	v_dual_cndmask_b32 v7, v4, v10 :: v_dual_cndmask_b32 v8, v9, v8
.LBB0_4:                                ;   in Loop: Header=BB0_2 Depth=1
	s_wait_alu 0xfffe
	s_and_not1_saveexec_b32 s2, s22
	s_cbranch_execz .LBB0_6
; %bb.5:                                ;   in Loop: Header=BB0_2 Depth=1
	v_cvt_f32_u32_e32 v4, s20
	s_sub_co_i32 s22, 0, s20
	s_delay_alu instid0(VALU_DEP_1) | instskip(NEXT) | instid1(TRANS32_DEP_1)
	v_rcp_iflag_f32_e32 v4, v4
	v_mul_f32_e32 v4, 0x4f7ffffe, v4
	s_delay_alu instid0(VALU_DEP_1) | instskip(SKIP_1) | instid1(VALU_DEP_1)
	v_cvt_u32_f32_e32 v4, v4
	s_wait_alu 0xfffe
	v_mul_lo_u32 v7, s22, v4
	s_delay_alu instid0(VALU_DEP_1) | instskip(NEXT) | instid1(VALU_DEP_1)
	v_mul_hi_u32 v7, v4, v7
	v_add_nc_u32_e32 v4, v4, v7
	s_delay_alu instid0(VALU_DEP_1) | instskip(NEXT) | instid1(VALU_DEP_1)
	v_mul_hi_u32 v4, v5, v4
	v_mul_lo_u32 v7, v4, s20
	v_add_nc_u32_e32 v8, 1, v4
	s_delay_alu instid0(VALU_DEP_2) | instskip(NEXT) | instid1(VALU_DEP_1)
	v_sub_nc_u32_e32 v7, v5, v7
	v_subrev_nc_u32_e32 v9, s20, v7
	v_cmp_le_u32_e32 vcc_lo, s20, v7
	s_wait_alu 0xfffd
	s_delay_alu instid0(VALU_DEP_2) | instskip(NEXT) | instid1(VALU_DEP_1)
	v_dual_cndmask_b32 v7, v7, v9 :: v_dual_cndmask_b32 v4, v4, v8
	v_cmp_le_u32_e32 vcc_lo, s20, v7
	s_delay_alu instid0(VALU_DEP_2) | instskip(SKIP_1) | instid1(VALU_DEP_1)
	v_add_nc_u32_e32 v8, 1, v4
	s_wait_alu 0xfffd
	v_dual_cndmask_b32 v7, v4, v8 :: v_dual_mov_b32 v8, v3
.LBB0_6:                                ;   in Loop: Header=BB0_2 Depth=1
	s_wait_alu 0xfffe
	s_or_b32 exec_lo, exec_lo, s2
	s_load_b64 s[22:23], s[14:15], 0x0
	s_delay_alu instid0(VALU_DEP_1)
	v_mul_lo_u32 v4, v8, s20
	v_mul_lo_u32 v11, v7, s21
	v_mad_co_u64_u32 v[9:10], null, v7, s20, 0
	s_add_nc_u64 s[16:17], s[16:17], 1
	s_add_nc_u64 s[14:15], s[14:15], 8
	s_wait_alu 0xfffe
	v_cmp_ge_u64_e64 s2, s[16:17], s[6:7]
	s_add_nc_u64 s[18:19], s[18:19], 8
	s_delay_alu instid0(VALU_DEP_2) | instskip(NEXT) | instid1(VALU_DEP_3)
	v_add3_u32 v4, v10, v11, v4
	v_sub_co_u32 v5, vcc_lo, v5, v9
	s_wait_alu 0xfffd
	s_delay_alu instid0(VALU_DEP_2) | instskip(SKIP_3) | instid1(VALU_DEP_2)
	v_sub_co_ci_u32_e32 v4, vcc_lo, v6, v4, vcc_lo
	s_and_b32 vcc_lo, exec_lo, s2
	s_wait_kmcnt 0x0
	v_mul_lo_u32 v6, s23, v5
	v_mul_lo_u32 v4, s22, v4
	v_mad_co_u64_u32 v[1:2], null, s22, v5, v[1:2]
	s_delay_alu instid0(VALU_DEP_1)
	v_add3_u32 v2, v6, v2, v4
	s_wait_alu 0xfffe
	s_cbranch_vccnz .LBB0_9
; %bb.7:                                ;   in Loop: Header=BB0_2 Depth=1
	v_dual_mov_b32 v5, v7 :: v_dual_mov_b32 v6, v8
	s_branch .LBB0_2
.LBB0_8:
	v_dual_mov_b32 v8, v6 :: v_dual_mov_b32 v7, v5
.LBB0_9:
	s_lshl_b64 s[2:3], s[6:7], 3
	v_mul_hi_u32 v3, 0x20c49bb, v0
	s_wait_alu 0xfffe
	s_add_nc_u64 s[2:3], s[12:13], s[2:3]
	s_load_b64 s[0:1], s[0:1], 0x20
	s_load_b64 s[2:3], s[2:3], 0x0
                                        ; implicit-def: $vgpr216
                                        ; implicit-def: $vgpr217
                                        ; implicit-def: $vgpr224
                                        ; implicit-def: $vgpr225
                                        ; implicit-def: $vgpr236
                                        ; implicit-def: $vgpr120
                                        ; implicit-def: $vgpr188
	s_delay_alu instid0(VALU_DEP_1) | instskip(NEXT) | instid1(VALU_DEP_1)
	v_mul_u32_u24_e32 v3, 0x7d, v3
	v_sub_nc_u32_e32 v209, v0, v3
	s_wait_kmcnt 0x0
	v_cmp_gt_u64_e32 vcc_lo, s[0:1], v[7:8]
	v_mad_co_u64_u32 v[0:1], null, s2, v7, v[1:2]
	s_delay_alu instid0(VALU_DEP_3)
	v_add_nc_u32_e32 v2, 0xfa, v209
	v_mul_lo_u32 v3, s2, v8
	v_mul_lo_u32 v4, s3, v7
	v_cmp_le_u64_e64 s0, s[0:1], v[7:8]
	scratch_store_b32 off, v2, off offset:48 ; 4-byte Folded Spill
	v_add_nc_u32_e32 v2, 0x177, v209
	v_add3_u32 v1, v4, v1, v3
	scratch_store_b32 off, v2, off offset:24 ; 4-byte Folded Spill
	v_add_nc_u32_e32 v2, 0x1f4, v209
	scratch_store_b32 off, v2, off offset:12 ; 4-byte Folded Spill
	v_add_nc_u32_e32 v2, 0x271, v209
	;; [unrolled: 2-line block ×3, first 2 shown]
	scratch_store_b32 off, v2, off offset:28 ; 4-byte Folded Spill
	s_and_saveexec_b32 s1, s0
	s_wait_alu 0xfffe
	s_xor_b32 s0, exec_lo, s1
; %bb.10:
	v_add_nc_u32_e32 v216, 0x7d, v209
	v_add_nc_u32_e32 v217, 0xfa, v209
	v_add_nc_u32_e32 v224, 0x177, v209
	v_add_nc_u32_e32 v225, 0x1f4, v209
	v_add_nc_u32_e32 v236, 0x271, v209
	v_add_nc_u32_e32 v120, 0x2ee, v209
	v_add_nc_u32_e32 v188, 0x465, v209
; %bb.11:
	s_wait_alu 0xfffe
	s_or_saveexec_b32 s1, s0
	v_lshlrev_b64_e32 v[0:1], 4, v[0:1]
                                        ; implicit-def: $vgpr2_vgpr3
                                        ; implicit-def: $vgpr26_vgpr27
                                        ; implicit-def: $vgpr30_vgpr31
                                        ; implicit-def: $vgpr6_vgpr7
                                        ; implicit-def: $vgpr38_vgpr39
                                        ; implicit-def: $vgpr42_vgpr43
                                        ; implicit-def: $vgpr10_vgpr11
                                        ; implicit-def: $vgpr46_vgpr47
                                        ; implicit-def: $vgpr50_vgpr51
                                        ; implicit-def: $vgpr14_vgpr15
                                        ; implicit-def: $vgpr54_vgpr55
                                        ; implicit-def: $vgpr58_vgpr59
                                        ; implicit-def: $vgpr18_vgpr19
                                        ; implicit-def: $vgpr62_vgpr63
                                        ; implicit-def: $vgpr66_vgpr67
                                        ; implicit-def: $vgpr22_vgpr23
                                        ; implicit-def: $vgpr94_vgpr95
                                        ; implicit-def: $vgpr70_vgpr71
                                        ; implicit-def: $vgpr34_vgpr35
                                        ; implicit-def: $vgpr102_vgpr103
                                        ; implicit-def: $vgpr74_vgpr75
                                        ; implicit-def: $vgpr78_vgpr79
                                        ; implicit-def: $vgpr110_vgpr111
                                        ; implicit-def: $vgpr98_vgpr99
                                        ; implicit-def: $vgpr82_vgpr83
                                        ; implicit-def: $vgpr118_vgpr119
                                        ; implicit-def: $vgpr106_vgpr107
                                        ; implicit-def: $vgpr86_vgpr87
                                        ; implicit-def: $vgpr114_vgpr115
                                        ; implicit-def: $vgpr90_vgpr91
	scratch_store_b64 off, v[0:1], off      ; 8-byte Folded Spill
	v_add_nc_u32_e32 v0, 0x9c4, v209
	scratch_store_b32 off, v0, off offset:36 ; 4-byte Folded Spill
	v_add_nc_u32_e32 v0, 0xa41, v209
	scratch_store_b32 off, v0, off offset:16 ; 4-byte Folded Spill
	;; [unrolled: 2-line block ×7, first 2 shown]
	s_wait_alu 0xfffe
	s_xor_b32 exec_lo, exec_lo, s1
	s_cbranch_execz .LBB0_13
; %bb.12:
	v_add_nc_u32_e32 v10, 0x4e2, v209
	v_add_nc_u32_e32 v12, 0x9c4, v209
	v_mad_co_u64_u32 v[0:1], null, s8, v209, 0
	v_add_nc_u32_e32 v27, 0xabe, v209
	s_delay_alu instid0(VALU_DEP_4) | instskip(NEXT) | instid1(VALU_DEP_4)
	v_mad_co_u64_u32 v[2:3], null, s8, v10, 0
	v_mad_co_u64_u32 v[6:7], null, s8, v12, 0
	v_add_nc_u32_e32 v225, 0x1f4, v209
	v_add_nc_u32_e32 v134, 0x2ee, v209
	;; [unrolled: 1-line block ×4, first 2 shown]
	v_mad_co_u64_u32 v[4:5], null, s9, v209, v[1:2]
	v_mov_b32_e32 v1, v3
	v_dual_mov_b32 v3, v7 :: v_dual_add_nc_u32 v216, 0x7d, v209
	s_delay_alu instid0(VALU_DEP_4) | instskip(NEXT) | instid1(VALU_DEP_3)
	v_mad_co_u64_u32 v[25:26], null, s8, v224, 0
	v_mad_co_u64_u32 v[10:11], null, s9, v10, v[1:2]
	v_mov_b32_e32 v1, v4
	s_delay_alu instid0(VALU_DEP_4)
	v_mad_co_u64_u32 v[11:12], null, s9, v12, v[3:4]
	scratch_load_b64 v[3:4], off, off       ; 8-byte Folded Reload
	v_mad_co_u64_u32 v[8:9], null, s8, v216, 0
	v_lshlrev_b64_e32 v[0:1], 4, v[0:1]
	v_add_nc_u32_e32 v34, 0x6d6, v209
	v_dual_mov_b32 v7, v11 :: v_dual_add_nc_u32 v236, 0x271, v209
	v_add_nc_u32_e32 v41, 0x753, v209
	v_add_nc_u32_e32 v53, 0x36b, v209
	;; [unrolled: 1-line block ×3, first 2 shown]
	s_delay_alu instid0(VALU_DEP_2)
	v_mad_co_u64_u32 v[49:50], null, s8, v53, 0
	s_wait_loadcnt 0x0
	v_add_co_u32 v18, s0, s10, v3
	v_mov_b32_e32 v3, v10
	s_wait_alu 0xf1ff
	v_add_co_ci_u32_e64 v19, s0, s11, v4, s0
	v_mov_b32_e32 v4, v9
	s_delay_alu instid0(VALU_DEP_3) | instskip(SKIP_4) | instid1(VALU_DEP_4)
	v_lshlrev_b64_e32 v[9:10], 4, v[2:3]
	v_add_co_u32 v2, s0, v18, v0
	s_wait_alu 0xf1ff
	v_add_co_ci_u32_e64 v3, s0, v19, v1, s0
	v_mad_co_u64_u32 v[0:1], null, s9, v216, v[4:5]
	v_add_co_u32 v4, s0, v18, v9
	s_wait_alu 0xf1ff
	v_add_co_ci_u32_e64 v5, s0, v19, v10, s0
	v_add_nc_u32_e32 v10, 0xa41, v209
	v_lshlrev_b64_e32 v[6:7], 4, v[6:7]
	v_mov_b32_e32 v9, v0
	s_clause 0x1
	global_load_b128 v[88:91], v[2:3], off
	global_load_b128 v[112:115], v[4:5], off
	v_mad_co_u64_u32 v[13:14], null, s8, v10, 0
	v_add_nc_u32_e32 v15, 0x55f, v209
	v_add_co_u32 v0, s0, v18, v6
	s_delay_alu instid0(VALU_DEP_3) | instskip(NEXT) | instid1(VALU_DEP_3)
	v_mov_b32_e32 v6, v14
	v_mad_co_u64_u32 v[11:12], null, s8, v15, 0
	s_delay_alu instid0(VALU_DEP_1) | instskip(NEXT) | instid1(VALU_DEP_1)
	v_mov_b32_e32 v1, v12
	v_mad_co_u64_u32 v[15:16], null, s9, v15, v[1:2]
	s_wait_alu 0xf1ff
	v_add_co_ci_u32_e64 v1, s0, v19, v7, s0
	v_lshlrev_b64_e32 v[7:8], 4, v[8:9]
	s_delay_alu instid0(VALU_DEP_3) | instskip(NEXT) | instid1(VALU_DEP_2)
	v_dual_mov_b32 v12, v15 :: v_dual_add_nc_u32 v15, 0x5dc, v209
	v_mad_co_u64_u32 v[9:10], null, s9, v10, v[6:7]
	v_add_nc_u32_e32 v217, 0xfa, v209
	v_add_co_u32 v6, s0, v18, v7
	s_wait_alu 0xf1ff
	v_add_co_ci_u32_e64 v7, s0, v19, v8, s0
	v_mad_co_u64_u32 v[20:21], null, s8, v15, 0
	v_mov_b32_e32 v14, v9
	v_mad_co_u64_u32 v[16:17], null, s8, v217, 0
	v_lshlrev_b64_e32 v[10:11], 4, v[11:12]
	s_delay_alu instid0(VALU_DEP_4) | instskip(NEXT) | instid1(VALU_DEP_3)
	v_mov_b32_e32 v12, v21
	v_mov_b32_e32 v8, v17
	s_delay_alu instid0(VALU_DEP_1) | instskip(SKIP_4) | instid1(VALU_DEP_4)
	v_mad_co_u64_u32 v[22:23], null, s9, v217, v[8:9]
	v_mad_co_u64_u32 v[23:24], null, s8, v27, 0
	v_add_co_u32 v8, s0, v18, v10
	s_wait_alu 0xf1ff
	v_add_co_ci_u32_e64 v9, s0, v19, v11, s0
	v_mov_b32_e32 v17, v22
	v_lshlrev_b64_e32 v[10:11], 4, v[13:14]
	v_mad_co_u64_u32 v[12:13], null, s9, v15, v[12:13]
	v_mov_b32_e32 v13, v24
	s_delay_alu instid0(VALU_DEP_4) | instskip(NEXT) | instid1(VALU_DEP_4)
	v_lshlrev_b64_e32 v[14:15], 4, v[16:17]
	v_add_co_u32 v10, s0, v18, v10
	s_wait_alu 0xf1ff
	v_add_co_ci_u32_e64 v11, s0, v19, v11, s0
	s_delay_alu instid0(VALU_DEP_3) | instskip(SKIP_1) | instid1(VALU_DEP_2)
	v_mad_co_u64_u32 v[16:17], null, s9, v27, v[13:14]
	v_dual_mov_b32 v17, v26 :: v_dual_add_nc_u32 v26, 0x659, v209
	v_mov_b32_e32 v24, v16
	s_delay_alu instid0(VALU_DEP_2) | instskip(SKIP_4) | instid1(VALU_DEP_3)
	v_mad_co_u64_u32 v[16:17], null, s9, v224, v[17:18]
	v_mov_b32_e32 v21, v12
	v_add_co_u32 v12, s0, v18, v14
	s_wait_alu 0xf1ff
	v_add_co_ci_u32_e64 v13, s0, v19, v15, s0
	v_lshlrev_b64_e32 v[14:15], 4, v[20:21]
	v_mad_co_u64_u32 v[20:21], null, s8, v26, 0
	s_delay_alu instid0(VALU_DEP_2) | instskip(SKIP_1) | instid1(VALU_DEP_3)
	v_add_co_u32 v14, s0, v18, v14
	s_wait_alu 0xf1ff
	v_add_co_ci_u32_e64 v15, s0, v19, v15, s0
	s_delay_alu instid0(VALU_DEP_3) | instskip(SKIP_1) | instid1(VALU_DEP_2)
	v_mov_b32_e32 v17, v21
	v_lshlrev_b64_e32 v[21:22], 4, v[23:24]
	v_mad_co_u64_u32 v[27:28], null, s9, v26, v[17:18]
	v_mov_b32_e32 v26, v16
	s_delay_alu instid0(VALU_DEP_3) | instskip(SKIP_1) | instid1(VALU_DEP_4)
	v_add_co_u32 v16, s0, v18, v21
	s_wait_alu 0xf1ff
	v_add_co_ci_u32_e64 v17, s0, v19, v22, s0
	s_delay_alu instid0(VALU_DEP_3) | instskip(SKIP_3) | instid1(VALU_DEP_4)
	v_lshlrev_b64_e32 v[25:26], 4, v[25:26]
	v_mov_b32_e32 v21, v27
	v_mad_co_u64_u32 v[27:28], null, s8, v225, 0
	v_add_nc_u32_e32 v29, 0xb3b, v209
	v_add_co_u32 v25, s0, v18, v25
	s_wait_alu 0xf1ff
	v_add_co_ci_u32_e64 v26, s0, v19, v26, s0
	s_delay_alu instid0(VALU_DEP_3) | instskip(NEXT) | instid1(VALU_DEP_1)
	v_mad_co_u64_u32 v[23:24], null, s8, v29, 0
	v_mov_b32_e32 v22, v24
	s_delay_alu instid0(VALU_DEP_1) | instskip(SKIP_2) | instid1(VALU_DEP_3)
	v_mad_co_u64_u32 v[29:30], null, s9, v29, v[22:23]
	v_mov_b32_e32 v22, v28
	v_mad_co_u64_u32 v[30:31], null, s8, v34, 0
	v_mov_b32_e32 v24, v29
	s_delay_alu instid0(VALU_DEP_3) | instskip(NEXT) | instid1(VALU_DEP_3)
	v_mad_co_u64_u32 v[28:29], null, s9, v225, v[22:23]
	v_dual_mov_b32 v22, v31 :: v_dual_add_nc_u32 v29, 0xbb8, v209
	s_delay_alu instid0(VALU_DEP_3) | instskip(SKIP_1) | instid1(VALU_DEP_3)
	v_lshlrev_b64_e32 v[23:24], 4, v[23:24]
	v_lshlrev_b64_e32 v[20:21], 4, v[20:21]
	v_mad_co_u64_u32 v[32:33], null, s8, v29, 0
	s_delay_alu instid0(VALU_DEP_3) | instskip(NEXT) | instid1(VALU_DEP_3)
	v_mad_co_u64_u32 v[34:35], null, s9, v34, v[22:23]
	v_add_co_u32 v20, s0, v18, v20
	s_wait_alu 0xf1ff
	s_delay_alu instid0(VALU_DEP_4) | instskip(SKIP_1) | instid1(VALU_DEP_4)
	v_add_co_ci_u32_e64 v21, s0, v19, v21, s0
	v_add_co_u32 v22, s0, v18, v23
	v_mov_b32_e32 v31, v34
	v_mad_co_u64_u32 v[34:35], null, s8, v236, 0
	s_wait_alu 0xf1ff
	v_add_co_ci_u32_e64 v23, s0, v19, v24, s0
	v_mov_b32_e32 v24, v33
	v_lshlrev_b64_e32 v[27:28], 4, v[27:28]
	s_delay_alu instid0(VALU_DEP_2)
	v_mad_co_u64_u32 v[36:37], null, s9, v29, v[24:25]
	v_mov_b32_e32 v24, v35
	v_mad_co_u64_u32 v[37:38], null, s8, v41, 0
	v_lshlrev_b64_e32 v[29:30], 4, v[30:31]
	v_add_co_u32 v27, s0, v18, v27
	v_mov_b32_e32 v33, v36
	v_mad_co_u64_u32 v[35:36], null, s9, v236, v[24:25]
	v_mov_b32_e32 v24, v38
	v_add_nc_u32_e32 v36, 0xc35, v209
	s_delay_alu instid0(VALU_DEP_4)
	v_lshlrev_b64_e32 v[31:32], 4, v[32:33]
	s_wait_alu 0xf1ff
	v_add_co_ci_u32_e64 v28, s0, v19, v28, s0
	v_mad_co_u64_u32 v[41:42], null, s9, v41, v[24:25]
	v_mad_co_u64_u32 v[39:40], null, s8, v36, 0
	v_add_co_u32 v29, s0, v18, v29
	s_wait_alu 0xf1ff
	v_add_co_ci_u32_e64 v30, s0, v19, v30, s0
	v_add_co_u32 v42, s0, v18, v31
	s_delay_alu instid0(VALU_DEP_4)
	v_mov_b32_e32 v24, v40
	s_wait_alu 0xf1ff
	v_add_co_ci_u32_e64 v43, s0, v19, v32, s0
	v_lshlrev_b64_e32 v[31:32], 4, v[34:35]
	v_mov_b32_e32 v38, v41
	v_mad_co_u64_u32 v[33:34], null, s8, v134, 0
	v_add_nc_u32_e32 v41, 0x7d0, v209
	v_mad_co_u64_u32 v[35:36], null, s9, v36, v[24:25]
	v_add_co_u32 v44, s0, v18, v31
	s_wait_alu 0xf1ff
	v_add_co_ci_u32_e64 v45, s0, v19, v32, s0
	v_mov_b32_e32 v24, v34
	s_delay_alu instid0(VALU_DEP_4) | instskip(SKIP_2) | instid1(VALU_DEP_4)
	v_dual_mov_b32 v40, v35 :: v_dual_add_nc_u32 v35, 0xcb2, v209
	v_lshlrev_b64_e32 v[31:32], 4, v[37:38]
	v_mad_co_u64_u32 v[36:37], null, s8, v41, 0
	v_mad_co_u64_u32 v[46:47], null, s9, v134, v[24:25]
	s_delay_alu instid0(VALU_DEP_3) | instskip(SKIP_1) | instid1(VALU_DEP_4)
	v_add_co_u32 v47, s0, v18, v31
	s_wait_alu 0xf1ff
	v_add_co_ci_u32_e64 v48, s0, v19, v32, s0
	v_lshlrev_b64_e32 v[31:32], 4, v[39:40]
	v_mad_co_u64_u32 v[38:39], null, s8, v35, 0
	v_mov_b32_e32 v24, v37
	v_mov_b32_e32 v34, v46
	v_add_nc_u32_e32 v46, 0x84d, v209
	v_add_co_u32 v51, s0, v18, v31
	s_delay_alu instid0(VALU_DEP_4) | instskip(SKIP_4) | instid1(VALU_DEP_3)
	v_mad_co_u64_u32 v[40:41], null, s9, v41, v[24:25]
	v_mov_b32_e32 v24, v39
	s_wait_alu 0xf1ff
	v_add_co_ci_u32_e64 v52, s0, v19, v32, s0
	v_lshlrev_b64_e32 v[31:32], 4, v[33:34]
	v_mad_co_u64_u32 v[33:34], null, s9, v35, v[24:25]
	v_mov_b32_e32 v37, v40
	v_mad_co_u64_u32 v[34:35], null, s8, v46, 0
	v_mov_b32_e32 v24, v50
	v_add_co_u32 v40, s0, v18, v31
	s_wait_alu 0xf1ff
	v_add_co_ci_u32_e64 v41, s0, v19, v32, s0
	v_lshlrev_b64_e32 v[31:32], 4, v[36:37]
	v_mov_b32_e32 v39, v33
	v_mad_co_u64_u32 v[36:37], null, s9, v53, v[24:25]
	v_dual_mov_b32 v24, v35 :: v_dual_add_nc_u32 v33, 0xd2f, v209
	s_delay_alu instid0(VALU_DEP_4)
	v_add_co_u32 v53, s0, v18, v31
	s_wait_alu 0xf1ff
	v_add_co_ci_u32_e64 v54, s0, v19, v32, s0
	v_lshlrev_b64_e32 v[31:32], 4, v[38:39]
	v_mad_co_u64_u32 v[37:38], null, s9, v46, v[24:25]
	v_mad_co_u64_u32 v[38:39], null, s8, v33, 0
	v_mov_b32_e32 v50, v36
	s_delay_alu instid0(VALU_DEP_4) | instskip(SKIP_2) | instid1(VALU_DEP_4)
	v_add_co_u32 v120, s0, v18, v31
	s_wait_alu 0xf1ff
	v_add_co_ci_u32_e64 v121, s0, v19, v32, s0
	v_dual_mov_b32 v35, v37 :: v_dual_mov_b32 v24, v39
	v_mad_co_u64_u32 v[36:37], null, s8, v57, 0
	v_lshlrev_b64_e32 v[31:32], 4, v[49:50]
	v_add_nc_u32_e32 v46, 0x8ca, v209
	s_delay_alu instid0(VALU_DEP_4) | instskip(NEXT) | instid1(VALU_DEP_3)
	v_mad_co_u64_u32 v[49:50], null, s9, v33, v[24:25]
	v_add_co_u32 v122, s0, v18, v31
	v_mov_b32_e32 v24, v37
	s_delay_alu instid0(VALU_DEP_4)
	v_mad_co_u64_u32 v[55:56], null, s8, v46, 0
	s_wait_alu 0xf1ff
	v_add_co_ci_u32_e64 v123, s0, v19, v32, s0
	v_lshlrev_b64_e32 v[31:32], 4, v[34:35]
	v_mov_b32_e32 v39, v49
	v_add_nc_u32_e32 v49, 0xdac, v209
	v_mad_co_u64_u32 v[33:34], null, s9, v57, v[24:25]
	v_mov_b32_e32 v24, v56
	v_add_co_u32 v124, s0, v18, v31
	s_delay_alu instid0(VALU_DEP_4)
	v_mad_co_u64_u32 v[34:35], null, s8, v49, 0
	s_wait_alu 0xf1ff
	v_add_co_ci_u32_e64 v125, s0, v19, v32, s0
	v_lshlrev_b64_e32 v[31:32], 4, v[38:39]
	v_mov_b32_e32 v37, v33
	v_mad_co_u64_u32 v[38:39], null, s9, v46, v[24:25]
	v_dual_mov_b32 v24, v35 :: v_dual_add_nc_u32 v33, 0x947, v209
	s_delay_alu instid0(VALU_DEP_4)
	v_add_co_u32 v126, s0, v18, v31
	s_wait_alu 0xf1ff
	v_add_co_ci_u32_e64 v127, s0, v19, v32, s0
	v_lshlrev_b64_e32 v[31:32], 4, v[36:37]
	v_mad_co_u64_u32 v[35:36], null, s9, v49, v[24:25]
	v_mad_co_u64_u32 v[36:37], null, s8, v188, 0
	v_mov_b32_e32 v56, v38
	s_delay_alu instid0(VALU_DEP_4)
	v_add_co_u32 v38, s0, v18, v31
	s_wait_alu 0xf1ff
	v_add_co_ci_u32_e64 v39, s0, v19, v32, s0
	v_mad_co_u64_u32 v[31:32], null, s8, v33, 0
	v_add_nc_u32_e32 v46, 0xe29, v209
	v_mov_b32_e32 v24, v37
	v_lshlrev_b64_e32 v[49:50], 4, v[55:56]
	s_delay_alu instid0(VALU_DEP_3) | instskip(NEXT) | instid1(VALU_DEP_3)
	v_mad_co_u64_u32 v[55:56], null, s8, v46, 0
	v_mad_co_u64_u32 v[57:58], null, s9, v188, v[24:25]
	v_mov_b32_e32 v24, v32
	s_delay_alu instid0(VALU_DEP_4) | instskip(SKIP_2) | instid1(VALU_DEP_3)
	v_add_co_u32 v128, s0, v18, v49
	s_wait_alu 0xf1ff
	v_add_co_ci_u32_e64 v129, s0, v19, v50, s0
	v_mad_co_u64_u32 v[49:50], null, s9, v33, v[24:25]
	v_mov_b32_e32 v37, v57
	v_lshlrev_b64_e32 v[33:34], 4, v[34:35]
	v_mov_b32_e32 v32, v56
	s_delay_alu instid0(VALU_DEP_3) | instskip(NEXT) | instid1(VALU_DEP_2)
	v_lshlrev_b64_e32 v[2:3], 4, v[36:37]
	v_mad_co_u64_u32 v[56:57], null, s9, v46, v[32:33]
	v_mov_b32_e32 v32, v49
	v_add_co_u32 v4, s0, v18, v33
	s_wait_alu 0xf1ff
	v_add_co_ci_u32_e64 v5, s0, v19, v34, s0
	s_delay_alu instid0(VALU_DEP_3) | instskip(SKIP_4) | instid1(VALU_DEP_4)
	v_lshlrev_b64_e32 v[31:32], 4, v[31:32]
	v_add_co_u32 v2, s0, v18, v2
	v_lshlrev_b64_e32 v[33:34], 4, v[55:56]
	s_wait_alu 0xf1ff
	v_add_co_ci_u32_e64 v3, s0, v19, v3, s0
	v_add_co_u32 v130, s0, v18, v31
	s_wait_alu 0xf1ff
	v_add_co_ci_u32_e64 v131, s0, v19, v32, s0
	v_add_co_u32 v132, s0, v18, v33
	s_wait_alu 0xf1ff
	v_add_co_ci_u32_e64 v133, s0, v19, v34, s0
	s_clause 0x1b
	global_load_b128 v[84:87], v[0:1], off
	global_load_b128 v[104:107], v[6:7], off
	;; [unrolled: 1-line block ×28, first 2 shown]
	v_mov_b32_e32 v120, v134
.LBB0_13:
	s_or_b32 exec_lo, exec_lo, s1
	s_wait_loadcnt 0x1b
	v_add_f64_e32 v[121:122], v[84:85], v[112:113]
	v_add_f64_e32 v[123:124], v[86:87], v[114:115]
	s_wait_loadcnt 0x18
	v_add_f64_e32 v[125:126], v[80:81], v[116:117]
	v_add_f64_e32 v[127:128], v[82:83], v[118:119]
	s_wait_loadcnt 0x15
	v_add_f64_e32 v[129:130], v[76:77], v[108:109]
	v_add_f64_e32 v[131:132], v[78:79], v[110:111]
	s_wait_loadcnt 0x12
	v_add_f64_e32 v[133:134], v[32:33], v[100:101]
	s_wait_loadcnt 0xf
	v_add_f64_e32 v[149:150], v[20:21], v[92:93]
	;; [unrolled: 2-line block ×3, first 2 shown]
	v_add_f64_e32 v[135:136], v[112:113], v[88:89]
	v_add_f64_e32 v[137:138], v[114:115], v[90:91]
	v_add_f64_e64 v[114:115], v[114:115], -v[86:87]
	v_add_f64_e32 v[139:140], v[116:117], v[104:105]
	v_add_f64_e32 v[141:142], v[118:119], v[106:107]
	;; [unrolled: 1-line block ×4, first 2 shown]
	v_add_f64_e64 v[112:113], v[112:113], -v[84:85]
	v_add_f64_e64 v[118:119], v[118:119], -v[82:83]
	;; [unrolled: 1-line block ×5, first 2 shown]
	s_wait_loadcnt 0x6
	v_add_f64_e32 v[157:158], v[8:9], v[44:45]
	s_wait_loadcnt 0x3
	v_add_f64_e32 v[163:164], v[4:5], v[36:37]
	v_add_f64_e32 v[151:152], v[22:23], v[94:95]
	;; [unrolled: 1-line block ×3, first 2 shown]
	s_wait_loadcnt 0x0
	v_add_f64_e32 v[167:168], v[0:1], v[24:25]
	v_add_f64_e32 v[147:148], v[34:35], v[102:103]
	;; [unrolled: 1-line block ×5, first 2 shown]
	v_add_f64_e64 v[159:160], v[62:63], -v[18:19]
	s_mov_b32 s0, 0xe8584caa
	s_mov_b32 s1, 0xbfebb67a
	;; [unrolled: 1-line block ×3, first 2 shown]
	s_wait_alu 0xfffe
	s_mov_b32 s2, s0
	v_mad_i32_i24 v215, v217, 24, 0
	v_mad_i32_i24 v233, v224, 24, 0
	v_mad_i32_i24 v228, v236, 24, 0
	v_fma_f64 v[88:89], v[121:122], -0.5, v[88:89]
	v_fma_f64 v[90:91], v[123:124], -0.5, v[90:91]
	v_add_f64_e32 v[121:122], v[100:101], v[72:73]
	v_fma_f64 v[104:105], v[125:126], -0.5, v[104:105]
	v_add_f64_e64 v[123:124], v[102:103], -v[34:35]
	v_fma_f64 v[106:107], v[127:128], -0.5, v[106:107]
	v_fma_f64 v[96:97], v[129:130], -0.5, v[96:97]
	;; [unrolled: 1-line block ×4, first 2 shown]
	v_add_f64_e32 v[129:130], v[18:19], v[62:63]
	v_add_f64_e32 v[133:134], v[12:13], v[52:53]
	;; [unrolled: 1-line block ×4, first 2 shown]
	v_add_f64_e64 v[127:128], v[94:95], -v[22:23]
	v_add_f64_e32 v[94:95], v[94:95], v[70:71]
	v_add_f64_e32 v[131:132], v[60:61], v[64:65]
	v_fma_f64 v[68:69], v[149:150], -0.5, v[68:69]
	v_fma_f64 v[64:65], v[153:154], -0.5, v[64:65]
	v_add_f64_e32 v[84:85], v[84:85], v[135:136]
	v_add_f64_e32 v[62:63], v[62:63], v[66:67]
	;; [unrolled: 1-line block ×3, first 2 shown]
	v_add_f64_e64 v[137:138], v[46:47], -v[10:11]
	v_add_f64_e32 v[80:81], v[80:81], v[139:140]
	v_add_f64_e32 v[82:83], v[82:83], v[141:142]
	;; [unrolled: 1-line block ×4, first 2 shown]
	v_fma_f64 v[40:41], v[163:164], -0.5, v[40:41]
	v_add_f64_e64 v[141:142], v[38:39], -v[6:7]
	v_add_f64_e64 v[92:93], v[92:93], -v[20:21]
	v_add_f64_e32 v[76:77], v[76:77], v[143:144]
	v_add_f64_e32 v[78:79], v[78:79], v[145:146]
	v_fma_f64 v[70:71], v[151:152], -0.5, v[70:71]
	v_add_f64_e64 v[60:61], v[60:61], -v[16:17]
	v_add_f64_e32 v[143:144], v[24:25], v[28:29]
	v_fma_f64 v[28:29], v[167:168], -0.5, v[28:29]
	v_add_f64_e64 v[145:146], v[26:27], -v[2:3]
	v_add_f64_e64 v[100:101], v[100:101], -v[32:33]
	v_fma_f64 v[74:75], v[147:148], -0.5, v[74:75]
	v_fma_f64 v[135:136], v[114:115], s[0:1], v[88:89]
	s_wait_alu 0xfffe
	v_fma_f64 v[88:89], v[114:115], s[2:3], v[88:89]
	v_fma_f64 v[114:115], v[112:113], s[2:3], v[90:91]
	;; [unrolled: 1-line block ×13, first 2 shown]
	v_fma_f64 v[66:67], v[129:130], -0.5, v[66:67]
	v_add_f64_e32 v[123:124], v[52:53], v[56:57]
	v_fma_f64 v[56:57], v[133:134], -0.5, v[56:57]
	v_add_f64_e64 v[129:130], v[54:55], -v[14:15]
	v_add_f64_e32 v[54:55], v[54:55], v[58:59]
	v_add_f64_e32 v[133:134], v[44:45], v[48:49]
	v_fma_f64 v[48:49], v[157:158], -0.5, v[48:49]
	v_fma_f64 v[58:59], v[155:156], -0.5, v[58:59]
	v_add_f64_e64 v[52:53], v[52:53], -v[12:13]
	v_fma_f64 v[50:51], v[161:162], -0.5, v[50:51]
	v_add_f64_e64 v[44:45], v[44:45], -v[8:9]
	v_add_f64_e32 v[32:33], v[32:33], v[121:122]
	v_fma_f64 v[121:122], v[165:166], -0.5, v[42:43]
	v_add_f64_e32 v[38:39], v[38:39], v[42:43]
	v_add_f64_e64 v[36:37], v[36:37], -v[4:5]
	v_add_f64_e32 v[26:27], v[26:27], v[30:31]
	v_fma_f64 v[30:31], v[169:170], -0.5, v[30:31]
	v_add_f64_e64 v[24:25], v[24:25], -v[0:1]
	v_add_f64_e32 v[102:103], v[34:35], v[102:103]
	v_fma_f64 v[34:35], v[127:128], s[0:1], v[68:69]
	v_fma_f64 v[42:43], v[127:128], s[2:3], v[68:69]
	v_add_f64_e32 v[68:69], v[22:23], v[94:95]
	v_add_f64_e32 v[16:17], v[16:17], v[131:132]
	v_fma_f64 v[22:23], v[159:160], s[0:1], v[64:65]
	v_fma_f64 v[64:65], v[159:160], s[2:3], v[64:65]
	v_add_f64_e32 v[20:21], v[20:21], v[125:126]
	v_add_f64_e32 v[62:63], v[18:19], v[62:63]
	;; [unrolled: 1-line block ×4, first 2 shown]
	v_fma_f64 v[10:11], v[141:142], s[0:1], v[40:41]
	v_fma_f64 v[40:41], v[141:142], s[2:3], v[40:41]
	;; [unrolled: 1-line block ×4, first 2 shown]
	v_add_f64_e32 v[0:1], v[0:1], v[143:144]
	v_fma_f64 v[162:163], v[100:101], s[2:3], v[74:75]
	v_fma_f64 v[74:75], v[100:101], s[0:1], v[74:75]
	v_mad_u32_u24 v127, v209, 24, 0
	v_mad_i32_i24 v128, v216, 24, 0
	v_fma_f64 v[92:93], v[60:61], s[2:3], v[66:67]
	v_add_f64_e32 v[12:13], v[12:13], v[123:124]
	v_fma_f64 v[60:61], v[60:61], s[0:1], v[66:67]
	v_fma_f64 v[18:19], v[129:130], s[0:1], v[56:57]
	;; [unrolled: 1-line block ×3, first 2 shown]
	v_add_f64_e32 v[54:55], v[14:15], v[54:55]
	v_add_f64_e32 v[8:9], v[8:9], v[133:134]
	v_fma_f64 v[14:15], v[137:138], s[0:1], v[48:49]
	v_fma_f64 v[48:49], v[137:138], s[2:3], v[48:49]
	;; [unrolled: 1-line block ×8, first 2 shown]
	v_add_f64_e32 v[38:39], v[6:7], v[38:39]
	v_fma_f64 v[50:51], v[36:37], s[2:3], v[121:122]
	v_fma_f64 v[36:37], v[36:37], s[0:1], v[121:122]
	v_mad_i32_i24 v210, v225, 24, 0
	v_add_f64_e32 v[121:122], v[2:3], v[26:27]
	v_fma_f64 v[123:124], v[24:25], s[2:3], v[30:31]
	v_mad_i32_i24 v208, v120, 24, 0
	v_fma_f64 v[125:126], v[24:25], s[0:1], v[30:31]
	ds_store_2addr_b64 v127, v[84:85], v[135:136] offset1:1
	ds_store_b64 v127, v[88:89] offset:16
	ds_store_2addr_b64 v128, v[80:81], v[112:113] offset1:1
	ds_store_b64 v128, v[104:105] offset:16
	;; [unrolled: 2-line block ×6, first 2 shown]
	v_add_nc_u32_e32 v64, 0x5208, v127
	v_add_nc_u32_e32 v65, 0x5dc0, v127
	v_lshl_add_u32 v226, v209, 3, 0
	v_and_b32_e32 v190, 0xff, v216
	v_and_b32_e32 v189, 0xffff, v217
	ds_store_2addr_b64 v208, v[12:13], v[18:19] offset1:1
	ds_store_b64 v208, v[56:57] offset:16
	v_mad_i32_i24 v56, v188, 24, 0
	ds_store_2addr_b64 v64, v[8:9], v[14:15] offset1:1
	ds_store_2addr_b64 v65, v[4:5], v[10:11] offset1:1
	ds_store_b64 v127, v[48:49] offset:21016
	ds_store_b64 v127, v[40:41] offset:24016
	ds_store_2addr_b64 v56, v[0:1], v[58:59] offset1:1
	ds_store_b64 v56, v[28:29] offset:16
	v_lshlrev_b32_e32 v0, 4, v120
	v_lshlrev_b32_e32 v4, 4, v216
	v_add_nc_u32_e32 v227, 0x2800, v226
	v_add_nc_u32_e32 v231, 0x4000, v226
	;; [unrolled: 1-line block ×3, first 2 shown]
	v_lshlrev_b32_e32 v12, 4, v217
	v_add_nc_u32_e32 v230, 0x5800, v226
	v_add_nc_u32_e32 v235, 0x6000, v226
	v_lshlrev_b32_e32 v13, 4, v224
	v_mul_lo_u16 v48, 0xab, v190
	v_add_nc_u32_e32 v229, 0x1800, v226
	v_mul_u32_u24_e32 v49, 0xaaab, v189
	v_add_nc_u32_e32 v232, 0x3000, v226
	global_wb scope:SCOPE_SE
	s_wait_storecnt_dscnt 0x0
	s_barrier_signal -1
	s_barrier_wait -1
	global_inv scope:SCOPE_SE
	s_clause 0x1
	scratch_store_b32 off, v0, off offset:60
	scratch_store_b32 off, v4, off offset:64
	ds_load_b64 v[146:147], v226
	v_sub_nc_u32_e32 v245, v208, v0
	ds_load_2addr_b64 v[0:3], v227 offset0:95 offset1:220
	v_sub_nc_u32_e32 v246, v128, v4
	ds_load_2addr_b64 v[4:7], v231 offset0:77 offset1:202
	ds_load_2addr_b64 v[8:11], v230 offset0:59 offset1:184
	;; [unrolled: 1-line block ×6, first 2 shown]
	s_clause 0x1
	scratch_store_b32 off, v12, off offset:68
	scratch_store_b32 off, v13, off offset:72
	v_sub_nc_u32_e32 v247, v215, v12
	v_lshlrev_b32_e32 v12, 4, v225
	v_add_nc_u32_e32 v237, 0x2000, v226
	v_sub_nc_u32_e32 v248, v233, v13
	v_add_nc_u32_e32 v243, 0x3800, v226
	v_lshlrev_b32_e32 v13, 4, v236
	v_lshrrev_b16 v191, 9, v48
	v_add_nc_u32_e32 v244, 0x5000, v226
	v_add_nc_u32_e32 v240, 0x6800, v226
	v_lshrrev_b32_e32 v192, 17, v49
	v_sub_nc_u32_e32 v249, v210, v12
	ds_load_2addr_b64 v[24:27], v237 offset0:101 offset1:226
	ds_load_2addr_b64 v[20:23], v243 offset0:83 offset1:208
	;; [unrolled: 1-line block ×3, first 2 shown]
	s_clause 0x1
	scratch_store_b32 off, v12, off offset:76
	scratch_store_b32 off, v13, off offset:80
	v_sub_nc_u32_e32 v250, v228, v13
	v_mul_lo_u16 v48, v191, 3
	ds_load_2addr_b64 v[12:15], v240 offset0:47 offset1:172
	ds_load_b64 v[154:155], v247
	ds_load_b64 v[152:153], v248
	;; [unrolled: 1-line block ×6, first 2 shown]
	ds_load_b64 v[158:159], v226 offset:29000
	global_wb scope:SCOPE_SE
	s_wait_storecnt_dscnt 0x0
	s_barrier_signal -1
	s_barrier_wait -1
	global_inv scope:SCOPE_SE
	ds_store_2addr_b64 v127, v[86:87], v[114:115] offset1:1
	ds_store_b64 v127, v[90:91] offset:16
	ds_store_2addr_b64 v128, v[82:83], v[118:119] offset1:1
	scratch_store_b32 off, v128, off offset:56 ; 4-byte Folded Spill
	ds_store_b64 v128, v[106:107] offset:16
	ds_store_2addr_b64 v215, v[78:79], v[110:111] offset1:1
	ds_store_b64 v215, v[98:99] offset:16
	ds_store_2addr_b64 v233, v[102:103], v[162:163] offset1:1
	;; [unrolled: 2-line block ×6, first 2 shown]
	ds_store_2addr_b64 v65, v[38:39], v[50:51] offset1:1
	ds_store_b64 v127, v[44:45] offset:21016
	ds_store_b64 v127, v[36:37] offset:24016
	v_mul_lo_u16 v36, v192, 3
	v_sub_nc_u16 v48, v216, v48
	ds_store_2addr_b64 v56, v[121:122], v[123:124] offset1:1
	ds_store_b64 v56, v[125:126] offset:16
	global_wb scope:SCOPE_SE
	s_wait_storecnt_dscnt 0x0
	s_barrier_signal -1
	v_sub_nc_u16 v36, v217, v36
	v_and_b32_e32 v193, 0xff, v48
	s_barrier_wait -1
	global_inv scope:SCOPE_SE
	v_and_b32_e32 v185, 0xffff, v224
	v_and_b32_e32 v194, 0xffff, v36
	v_lshlrev_b32_e32 v44, 6, v193
	v_and_b32_e32 v186, 0xffff, v225
	v_and_b32_e32 v187, 0xff, v209
	v_mul_u32_u24_e32 v36, 0xaaab, v185
	v_lshlrev_b32_e32 v45, 6, v194
	s_clause 0x2
	global_load_b128 v[162:165], v44, s[4:5]
	global_load_b128 v[168:171], v45, s[4:5]
	global_load_b128 v[202:205], v44, s[4:5] offset:16
	v_lshrrev_b32_e32 v195, 17, v36
	s_clause 0x3
	global_load_b128 v[128:131], v45, s[4:5] offset:16
	global_load_b128 v[36:39], v45, s[4:5] offset:32
	;; [unrolled: 1-line block ×4, first 2 shown]
	v_mul_lo_u16 v46, v195, 3
	v_mul_u32_u24_e32 v47, 0xaaab, v186
	global_load_b128 v[48:51], v45, s[4:5] offset:48
	v_and_b32_e32 v184, 0xffff, v236
	s_mov_b32 s14, 0x134454ff
	v_sub_nc_u16 v46, v224, v46
	v_lshrrev_b32_e32 v198, 17, v47
	s_mov_b32 s15, 0xbfee6f0e
	v_mul_u32_u24_e32 v75, 0xaaab, v184
	s_mov_b32 s13, 0x3fee6f0e
	v_and_b32_e32 v253, 0xffff, v46
	v_mul_lo_u16 v44, v198, 3
	s_mov_b32 s12, s14
	v_lshrrev_b32_e32 v251, 17, v75
	s_mov_b32 s2, 0x4755a5e
	v_lshlrev_b32_e32 v72, 6, v253
	v_sub_nc_u16 v44, v225, v44
	s_mov_b32 s3, 0xbfe2cf23
	s_mov_b32 s7, 0x3fe2cf23
	s_wait_alu 0xfffe
	s_mov_b32 s6, s2
	global_load_b128 v[56:59], v72, s[4:5]
	v_mul_lo_u16 v45, 0xab, v187
	v_and_b32_e32 v254, 0xffff, v44
	s_mov_b32 s16, 0x372fe950
	s_mov_b32 s17, 0x3fd3c6ef
	v_cmp_gt_u32_e64 s0, 0x4b, v209
	v_lshrrev_b16 v255, 9, v45
	v_lshlrev_b32_e32 v73, 6, v254
	s_mov_b32 s19, 0xbfd3c6ef
	s_wait_alu 0xfffe
	s_mov_b32 s18, s16
	s_mov_b32 s21, 0xbfe9e377
	v_mul_lo_u16 v45, v255, 3
	s_delay_alu instid0(VALU_DEP_1) | instskip(NEXT) | instid1(VALU_DEP_1)
	v_sub_nc_u16 v44, v209, v45
	v_and_b32_e32 v199, 0xff, v44
	global_load_b128 v[44:47], v73, s[4:5]
	v_lshlrev_b32_e32 v74, 6, v199
	s_clause 0x4
	global_load_b128 v[68:71], v74, s[4:5]
	global_load_b128 v[64:67], v72, s[4:5] offset:16
	global_load_b128 v[52:55], v74, s[4:5] offset:16
	;; [unrolled: 1-line block ×4, first 2 shown]
	v_mul_lo_u16 v74, v251, 3
	s_clause 0x3
	global_load_b128 v[100:103], v73, s[4:5] offset:16
	global_load_b128 v[96:99], v72, s[4:5] offset:32
	;; [unrolled: 1-line block ×4, first 2 shown]
	v_lshlrev_b32_e32 v145, 3, v199
	v_sub_nc_u16 v74, v236, v74
	s_delay_alu instid0(VALU_DEP_1) | instskip(NEXT) | instid1(VALU_DEP_1)
	v_and_b32_e32 v252, 0xffff, v74
	v_lshlrev_b32_e32 v108, 6, v252
	s_clause 0x4
	global_load_b128 v[84:87], v73, s[4:5] offset:48
	global_load_b128 v[76:79], v108, s[4:5]
	global_load_b128 v[72:75], v108, s[4:5] offset:16
	global_load_b128 v[92:95], v108, s[4:5] offset:32
	;; [unrolled: 1-line block ×3, first 2 shown]
	ds_load_2addr_b64 v[211:214], v229 offset0:107 offset1:232
	ds_load_2addr_b64 v[140:143], v232 offset0:89 offset1:214
	;; [unrolled: 1-line block ×5, first 2 shown]
	s_wait_loadcnt_dscnt 0x1704
	v_mul_f64_e32 v[166:167], v[211:212], v[164:165]
	v_mul_f64_e32 v[164:165], v[136:137], v[164:165]
	s_wait_loadcnt 0x16
	v_mul_f64_e32 v[172:173], v[213:214], v[170:171]
	v_mul_f64_e32 v[170:171], v[138:139], v[170:171]
	s_wait_loadcnt_dscnt 0x1503
	v_mul_f64_e32 v[218:219], v[140:141], v[204:205]
	v_mul_f64_e32 v[204:205], v[40:41], v[204:205]
	s_wait_loadcnt 0x14
	v_mul_f64_e32 v[220:221], v[142:143], v[130:131]
	v_mul_f64_e32 v[176:177], v[42:43], v[130:131]
	s_wait_loadcnt_dscnt 0x1202
	v_mul_f64_e32 v[178:179], v[124:125], v[134:135]
	v_mul_f64_e32 v[180:181], v[32:33], v[134:135]
	;; [unrolled: 1-line block ×4, first 2 shown]
	v_fma_f64 v[134:135], v[136:137], v[162:163], v[166:167]
	v_fma_f64 v[130:131], v[211:212], v[162:163], -v[164:165]
	s_wait_loadcnt_dscnt 0x1101
	v_mul_f64_e32 v[164:165], v[120:121], v[62:63]
	v_fma_f64 v[136:137], v[138:139], v[168:169], v[172:173]
	v_mul_f64_e32 v[166:167], v[28:29], v[62:63]
	v_fma_f64 v[62:63], v[213:214], v[168:169], -v[170:171]
	s_wait_loadcnt 0x10
	v_mul_f64_e32 v[168:169], v[122:123], v[50:51]
	v_mul_f64_e32 v[170:171], v[30:31], v[50:51]
	s_wait_loadcnt_dscnt 0xf00
	v_mul_f64_e32 v[162:163], v[116:117], v[58:59]
	v_mul_f64_e32 v[172:173], v[24:25], v[58:59]
	ds_load_b64 v[138:139], v245
	v_fma_f64 v[50:51], v[140:141], v[202:203], -v[204:205]
	v_and_b32_e32 v140, 0xffff, v255
	v_fma_f64 v[58:59], v[40:41], v[202:203], v[218:219]
	ds_load_2addr_b64 v[38:41], v243 offset0:83 offset1:208
	ds_load_2addr_b64 v[202:205], v227 offset0:95 offset1:220
	;; [unrolled: 1-line block ×3, first 2 shown]
	v_fma_f64 v[42:43], v[42:43], v[128:129], v[220:221]
	v_mul_u32_u24_e32 v144, 0x78, v140
	v_fma_f64 v[128:129], v[142:143], v[128:129], -v[176:177]
	v_fma_f64 v[140:141], v[32:33], v[132:133], v[178:179]
	v_fma_f64 v[32:33], v[124:125], v[132:133], -v[180:181]
	ds_load_2addr_b64 v[176:179], v230 offset0:59 offset1:184
	ds_load_b64 v[180:181], v246
	s_wait_loadcnt 0xe
	v_mul_f64_e32 v[142:143], v[118:119], v[46:47]
	v_mul_f64_e32 v[132:133], v[26:27], v[46:47]
	v_fma_f64 v[34:35], v[34:35], v[36:37], v[182:183]
	s_wait_loadcnt 0xd
	v_mul_f64_e32 v[218:219], v[160:161], v[70:71]
	v_fma_f64 v[36:37], v[126:127], v[36:37], -v[174:175]
	ds_load_2addr_b64 v[124:127], v244 offset0:65 offset1:190
	ds_load_b64 v[174:175], v226 offset:29000
	v_and_b32_e32 v46, 0xffff, v191
	s_wait_dscnt 0x7
	v_mul_f64_e32 v[182:183], v[138:139], v[70:71]
	v_add3_u32 v70, 0, v144, v145
	v_mul_u32_u24_e32 v71, 0x78, v192
	v_lshlrev_b32_e32 v47, 3, v193
	s_wait_loadcnt_dscnt 0xc06
	v_mul_f64_e32 v[220:221], v[38:39], v[66:67]
	v_mul_f64_e32 v[66:67], v[20:21], v[66:67]
	v_mul_u32_u24_e32 v46, 0x78, v46
	v_lshlrev_b32_e32 v144, 3, v194
	v_fma_f64 v[164:165], v[28:29], v[60:61], v[164:165]
	s_delay_alu instid0(VALU_DEP_3)
	v_add3_u32 v47, 0, v46, v47
	v_fma_f64 v[28:29], v[120:121], v[60:61], -v[166:167]
	s_wait_loadcnt_dscnt 0xb05
	v_mul_f64_e32 v[166:167], v[204:205], v[54:55]
	v_fma_f64 v[60:61], v[30:31], v[48:49], v[168:169]
	v_fma_f64 v[30:31], v[122:123], v[48:49], -v[170:171]
	s_wait_loadcnt_dscnt 0xa04
	v_mul_f64_e32 v[48:49], v[213:214], v[106:107]
	v_mul_f64_e32 v[54:55], v[2:3], v[54:55]
	;; [unrolled: 1-line block ×3, first 2 shown]
	v_fma_f64 v[24:25], v[24:25], v[56:57], v[162:163]
	ds_load_b64 v[162:163], v226
	v_fma_f64 v[56:57], v[116:117], v[56:57], -v[172:173]
	s_wait_loadcnt_dscnt 0x904
	v_mul_f64_e32 v[116:117], v[178:179], v[114:115]
	ds_load_2addr_b64 v[120:123], v240 offset0:47 offset1:172
	v_mul_f64_e32 v[114:115], v[10:11], v[114:115]
	v_add3_u32 v46, 0, v71, v144
	v_mul_u32_u24_e32 v71, 0x78, v198
	v_fma_f64 v[26:27], v[26:27], v[44:45], v[142:143]
	v_fma_f64 v[44:45], v[118:119], v[44:45], -v[132:133]
	s_wait_loadcnt_dscnt 0x703
	v_mul_f64_e32 v[118:119], v[124:125], v[98:99]
	v_mul_f64_e32 v[142:143], v[40:41], v[102:103]
	s_wait_loadcnt 0x6
	v_mul_f64_e32 v[132:133], v[126:127], v[90:91]
	v_mul_f64_e32 v[90:91], v[18:19], v[90:91]
	;; [unrolled: 1-line block ×4, first 2 shown]
	v_fma_f64 v[160:161], v[160:161], v[68:69], v[182:183]
	v_fma_f64 v[68:69], v[138:139], v[68:69], -v[218:219]
	v_fma_f64 v[20:21], v[20:21], v[64:65], v[220:221]
	s_wait_loadcnt_dscnt 0x500
	v_mul_f64_e32 v[168:169], v[120:121], v[82:83]
	s_wait_loadcnt 0x4
	v_mul_f64_e32 v[138:139], v[122:123], v[86:87]
	v_mul_f64_e32 v[82:83], v[12:13], v[82:83]
	;; [unrolled: 1-line block ×3, first 2 shown]
	v_fma_f64 v[64:65], v[38:39], v[64:65], -v[66:67]
	s_wait_loadcnt 0x3
	v_mul_f64_e32 v[66:67], v[202:203], v[78:79]
	v_mul_f64_e32 v[78:79], v[0:1], v[78:79]
	v_mul_u32_u24_e32 v38, 0x78, v195
	v_fma_f64 v[2:3], v[2:3], v[52:53], v[166:167]
	s_wait_loadcnt 0x1
	v_mul_f64_e32 v[166:167], v[176:177], v[94:95]
	v_mul_f64_e32 v[94:95], v[8:9], v[94:95]
	v_fma_f64 v[6:7], v[6:7], v[104:105], v[48:49]
	v_fma_f64 v[52:53], v[204:205], v[52:53], -v[54:55]
	v_mul_f64_e32 v[54:55], v[211:212], v[74:75]
	v_fma_f64 v[48:49], v[213:214], v[104:105], -v[106:107]
	s_wait_loadcnt 0x0
	v_mul_f64_e32 v[104:105], v[174:175], v[110:111]
	v_mul_f64_e32 v[74:75], v[4:5], v[74:75]
	v_fma_f64 v[10:11], v[10:11], v[112:113], v[116:117]
	v_mul_f64_e32 v[110:111], v[158:159], v[110:111]
	v_fma_f64 v[106:107], v[178:179], v[112:113], -v[114:115]
	v_lshlrev_b32_e32 v39, 3, v253
	v_lshlrev_b32_e32 v112, 3, v254
	v_add_f64_e64 v[114:115], v[140:141], -v[164:165]
	v_add_f64_e64 v[116:117], v[136:137], -v[42:43]
	s_delay_alu instid0(VALU_DEP_4) | instskip(NEXT) | instid1(VALU_DEP_4)
	v_add3_u32 v39, 0, v38, v39
	v_add3_u32 v38, 0, v71, v112
	v_fma_f64 v[16:17], v[16:17], v[96:97], v[118:119]
	v_fma_f64 v[22:23], v[22:23], v[100:101], v[142:143]
	;; [unrolled: 1-line block ×3, first 2 shown]
	v_fma_f64 v[88:89], v[126:127], v[88:89], -v[90:91]
	v_fma_f64 v[100:101], v[40:41], v[100:101], -v[102:103]
	;; [unrolled: 1-line block ×3, first 2 shown]
	v_add_f64_e64 v[102:103], v[134:135], -v[58:59]
	v_add_f64_e32 v[132:133], v[42:43], v[34:35]
	v_add_f64_e64 v[142:143], v[42:43], -v[136:137]
	v_add_f64_e64 v[112:113], v[58:59], -v[134:135]
	;; [unrolled: 1-line block ×3, first 2 shown]
	v_fma_f64 v[12:13], v[12:13], v[80:81], v[168:169]
	v_fma_f64 v[14:15], v[14:15], v[84:85], v[138:139]
	v_fma_f64 v[80:81], v[120:121], v[80:81], -v[82:83]
	v_fma_f64 v[82:83], v[122:123], v[84:85], -v[86:87]
	v_add_f64_e32 v[138:139], v[136:137], v[60:61]
	v_fma_f64 v[0:1], v[0:1], v[76:77], v[66:67]
	v_fma_f64 v[66:67], v[202:203], v[76:77], -v[78:79]
	v_add_f64_e32 v[77:78], v[146:147], v[160:161]
	v_add_f64_e64 v[86:87], v[160:161], -v[2:3]
	v_fma_f64 v[8:9], v[8:9], v[92:93], v[166:167]
	v_add_f64_e64 v[118:119], v[60:61], -v[34:35]
	v_add_f64_e32 v[84:85], v[2:3], v[6:7]
	v_add_f64_e64 v[126:127], v[130:131], -v[28:29]
	v_fma_f64 v[4:5], v[4:5], v[72:73], v[54:55]
	v_add_f64_e32 v[120:121], v[154:155], v[136:137]
	v_fma_f64 v[54:55], v[158:159], v[108:109], v[104:105]
	v_fma_f64 v[71:72], v[211:212], v[72:73], -v[74:75]
	v_add_f64_e64 v[90:91], v[10:11], -v[6:7]
	v_fma_f64 v[75:76], v[174:175], v[108:109], -v[110:111]
	v_add_f64_e32 v[108:109], v[134:135], v[164:165]
	v_add_f64_e32 v[110:111], v[58:59], v[140:141]
	;; [unrolled: 1-line block ×3, first 2 shown]
	v_fma_f64 v[73:74], v[176:177], v[92:93], -v[94:95]
	v_add_f64_e64 v[92:93], v[2:3], -v[160:161]
	v_add_f64_e32 v[94:95], v[156:157], v[134:135]
	v_add_f64_e64 v[98:99], v[6:7], -v[10:11]
	v_add_f64_e64 v[104:105], v[164:165], -v[140:141]
	;; [unrolled: 1-line block ×3, first 2 shown]
	v_add_f64_e32 v[191:192], v[20:21], v[16:17]
	v_add_f64_e64 v[122:123], v[68:69], -v[106:107]
	v_add_f64_e64 v[193:194], v[22:23], -v[26:27]
	v_add_f64_e32 v[241:242], v[22:23], v[18:19]
	v_add_f64_e64 v[174:175], v[50:51], -v[32:33]
	v_add_f64_e64 v[176:177], v[26:27], -v[22:23]
	;; [unrolled: 1-line block ×6, first 2 shown]
	v_add_f64_e32 v[182:183], v[24:25], v[12:13]
	v_add_f64_e32 v[204:205], v[26:27], v[14:15]
	v_add_f64_e64 v[172:173], v[16:17], -v[12:13]
	v_add_f64_e64 v[198:199], v[18:19], -v[14:15]
	;; [unrolled: 1-line block ×4, first 2 shown]
	v_fma_f64 v[138:139], v[138:139], -0.5, v[154:155]
	v_add_f64_e32 v[77:78], v[77:78], v[2:3]
	v_fma_f64 v[132:133], v[132:133], -0.5, v[154:155]
	v_add_f64_e64 v[154:155], v[56:57], -v[80:81]
	v_add_f64_e32 v[112:113], v[112:113], v[114:115]
	v_fma_f64 v[84:85], v[84:85], -0.5, v[146:147]
	v_add_f64_e32 v[114:115], v[150:151], v[26:27]
	v_add_f64_e64 v[202:203], v[0:1], -v[4:5]
	v_add_f64_e64 v[213:214], v[4:5], -v[0:1]
	;; [unrolled: 1-line block ×3, first 2 shown]
	v_add_f64_e32 v[195:196], v[0:1], v[54:55]
	v_add_f64_e32 v[86:87], v[86:87], v[90:91]
	;; [unrolled: 1-line block ×3, first 2 shown]
	v_fma_f64 v[108:109], v[108:109], -0.5, v[156:157]
	v_fma_f64 v[110:111], v[110:111], -0.5, v[156:157]
	;; [unrolled: 1-line block ×3, first 2 shown]
	v_add_f64_e64 v[218:219], v[8:9], -v[54:55]
	v_add_f64_e64 v[146:147], v[62:63], -v[30:31]
	v_add_f64_e32 v[94:95], v[94:95], v[58:59]
	v_add_f64_e32 v[92:93], v[92:93], v[98:99]
	v_add_f64_e64 v[98:99], v[128:129], -v[36:37]
	v_add_f64_e32 v[102:103], v[102:103], v[104:105]
	v_add_f64_e32 v[104:105], v[152:153], v[24:25]
	;; [unrolled: 1-line block ×3, first 2 shown]
	v_add_f64_e64 v[158:159], v[64:65], -v[96:97]
	v_add_f64_e32 v[116:117], v[116:117], v[118:119]
	v_add_f64_e32 v[118:119], v[148:149], v[0:1]
	;; [unrolled: 1-line block ×4, first 2 shown]
	v_add_f64_e64 v[2:3], v[2:3], -v[6:7]
	v_add_f64_e64 v[58:59], v[58:59], -v[140:141]
	v_add_f64_e32 v[120:121], v[120:121], v[42:43]
	v_fma_f64 v[182:183], v[182:183], -0.5, v[152:153]
	v_fma_f64 v[152:153], v[191:192], -0.5, v[152:153]
	v_add_f64_e64 v[191:192], v[100:101], -v[88:89]
	v_fma_f64 v[204:205], v[204:205], -0.5, v[150:151]
	v_add_f64_e32 v[170:171], v[170:171], v[172:173]
	v_add_f64_e64 v[172:173], v[44:45], -v[82:83]
	v_add_f64_e32 v[193:194], v[193:194], v[198:199]
	v_fma_f64 v[150:151], v[241:242], -0.5, v[150:151]
	v_add_f64_e32 v[176:177], v[176:177], v[178:179]
	v_add_f64_e64 v[178:179], v[71:72], -v[73:74]
	v_add_f64_e64 v[241:242], v[66:67], -v[75:76]
	v_fma_f64 v[198:199], v[122:123], s[14:15], v[84:85]
	v_fma_f64 v[84:85], v[122:123], s[12:13], v[84:85]
	v_add_f64_e32 v[166:167], v[166:167], v[168:169]
	v_add_f64_e32 v[6:7], v[77:78], v[6:7]
	;; [unrolled: 1-line block ×3, first 2 shown]
	v_fma_f64 v[195:196], v[195:196], -0.5, v[148:149]
	v_add_f64_e32 v[114:115], v[114:115], v[22:23]
	v_fma_f64 v[90:91], v[90:91], -0.5, v[148:149]
	v_fma_f64 v[211:212], v[174:175], s[12:13], v[108:109]
	v_fma_f64 v[108:109], v[174:175], s[14:15], v[108:109]
	;; [unrolled: 1-line block ×6, first 2 shown]
	v_add_f64_e32 v[213:214], v[213:214], v[218:219]
	v_add_f64_e32 v[218:219], v[220:221], v[253:254]
	v_fma_f64 v[220:221], v[98:99], s[12:13], v[138:139]
	v_add_f64_e32 v[104:105], v[104:105], v[20:21]
	v_fma_f64 v[138:139], v[98:99], s[14:15], v[138:139]
	v_add_f64_e32 v[77:78], v[94:95], v[140:141]
	v_fma_f64 v[94:95], v[146:147], s[14:15], v[132:133]
	v_fma_f64 v[132:133], v[146:147], s[12:13], v[132:133]
	v_add_f64_e32 v[118:119], v[118:119], v[4:5]
	v_add_f64_e32 v[238:239], v[238:239], v[52:53]
	v_add_f64_e64 v[52:53], v[52:53], -v[68:69]
	v_add_f64_e32 v[68:69], v[68:69], v[106:107]
	v_add_f64_e64 v[160:161], v[160:161], -v[10:11]
	v_fma_f64 v[140:141], v[158:159], s[12:13], v[182:183]
	v_fma_f64 v[182:183], v[158:159], s[14:15], v[182:183]
	;; [unrolled: 1-line block ×6, first 2 shown]
	v_fma_f64 v[156:157], v[156:157], -0.5, v[162:163]
	v_add_f64_e32 v[120:121], v[120:121], v[34:35]
	v_add_f64_e64 v[134:135], v[134:135], -v[164:165]
	v_add_f64_e64 v[136:137], v[136:137], -v[60:61]
	;; [unrolled: 1-line block ×3, first 2 shown]
	v_fma_f64 v[198:199], v[124:125], s[2:3], v[198:199]
	v_fma_f64 v[84:85], v[124:125], s[6:7], v[84:85]
	;; [unrolled: 1-line block ×4, first 2 shown]
	v_add_f64_e32 v[6:7], v[6:7], v[10:11]
	v_add_f64_e32 v[10:11], v[64:65], v[96:97]
	;; [unrolled: 1-line block ×3, first 2 shown]
	v_add_f64_e64 v[18:19], v[22:23], -v[18:19]
	v_fma_f64 v[211:212], v[126:127], s[2:3], v[211:212]
	v_fma_f64 v[108:109], v[126:127], s[6:7], v[108:109]
	;; [unrolled: 1-line block ×12, first 2 shown]
	v_add_f64_e32 v[104:105], v[104:105], v[16:17]
	v_fma_f64 v[94:95], v[98:99], s[2:3], v[94:95]
	v_fma_f64 v[98:99], v[98:99], s[6:7], v[132:133]
	v_add_f64_e32 v[118:119], v[118:119], v[8:9]
	v_mul_u32_u24_e32 v40, 0x78, v251
	v_fma_f64 v[68:69], v[68:69], -0.5, v[162:163]
	v_add_f64_e32 v[162:163], v[128:129], v[36:37]
	v_fma_f64 v[132:133], v[154:155], s[2:3], v[140:141]
	v_fma_f64 v[140:141], v[154:155], s[6:7], v[182:183]
	;; [unrolled: 1-line block ×6, first 2 shown]
	v_lshlrev_b32_e32 v41, 3, v252
	v_fma_f64 v[146:147], v[160:161], s[12:13], v[156:157]
	ds_load_b64 v[182:183], v247
	ds_load_b64 v[200:201], v248
	;; [unrolled: 1-line block ×4, first 2 shown]
	v_add_f64_e32 v[77:78], v[77:78], v[164:165]
	v_add_f64_e32 v[164:165], v[56:57], v[80:81]
	v_add_f64_e32 v[60:61], v[120:121], v[60:61]
	v_fma_f64 v[84:85], v[86:87], s[16:17], v[84:85]
	v_fma_f64 v[124:125], v[191:192], s[2:3], v[124:125]
	v_fma_f64 v[150:151], v[191:192], s[6:7], v[150:151]
	v_add_f64_e64 v[191:192], v[48:49], -v[106:107]
	v_add_f64_e32 v[48:49], v[238:239], v[48:49]
	v_add_f64_e32 v[238:239], v[62:63], v[30:31]
	;; [unrolled: 1-line block ×4, first 2 shown]
	v_fma_f64 v[108:109], v[112:113], s[16:17], v[108:109]
	v_fma_f64 v[126:127], v[241:242], s[2:3], v[126:127]
	v_fma_f64 v[195:196], v[241:242], s[6:7], v[195:196]
	v_add_f64_e32 v[241:242], v[50:51], v[32:33]
	v_add3_u32 v40, 0, v40, v41
	v_fma_f64 v[174:175], v[178:179], s[2:3], v[174:175]
	v_fma_f64 v[90:91], v[178:179], s[6:7], v[90:91]
	v_add_f64_e32 v[178:179], v[130:131], v[28:29]
	v_fma_f64 v[168:169], v[92:93], s[16:17], v[168:169]
	v_fma_f64 v[92:93], v[92:93], s[16:17], v[122:123]
	;; [unrolled: 1-line block ×3, first 2 shown]
	v_add_f64_e32 v[104:105], v[104:105], v[12:13]
	v_fma_f64 v[86:87], v[112:113], s[16:17], v[211:212]
	v_fma_f64 v[112:113], v[102:103], s[16:17], v[148:149]
	;; [unrolled: 1-line block ×12, first 2 shown]
	v_add_f64_e64 v[12:13], v[24:25], -v[12:13]
	v_add_f64_e32 v[24:25], v[100:101], v[88:89]
	v_add_f64_e32 v[166:167], v[44:45], v[82:83]
	;; [unrolled: 1-line block ×4, first 2 shown]
	v_fma_f64 v[148:149], v[193:194], s[16:17], v[158:159]
	v_add_f64_e32 v[118:119], v[118:119], v[54:55]
	v_fma_f64 v[124:125], v[176:177], s[16:17], v[124:125]
	v_fma_f64 v[150:151], v[176:177], s[16:17], v[150:151]
	s_wait_dscnt 0x3
	v_add_f64_e32 v[41:42], v[182:183], v[62:63]
	v_fma_f64 v[162:163], v[162:163], -0.5, v[182:183]
	global_wb scope:SCOPE_SE
	s_wait_dscnt 0x0
	s_barrier_signal -1
	s_barrier_wait -1
	global_inv scope:SCOPE_SE
	v_fma_f64 v[126:127], v[213:214], s[16:17], v[126:127]
	v_fma_f64 v[158:159], v[213:214], s[16:17], v[195:196]
	;; [unrolled: 1-line block ×3, first 2 shown]
	v_add_f64_e64 v[16:17], v[20:21], -v[16:17]
	v_fma_f64 v[154:155], v[202:203], s[16:17], v[174:175]
	v_fma_f64 v[174:175], v[241:242], -0.5, v[180:181]
	v_fma_f64 v[176:177], v[178:179], -0.5, v[180:181]
	v_fma_f64 v[90:91], v[202:203], s[16:17], v[90:91]
	v_add_f64_e32 v[20:21], v[200:201], v[56:57]
	v_fma_f64 v[178:179], v[238:239], -0.5, v[182:183]
	v_fma_f64 v[164:165], v[164:165], -0.5, v[200:201]
	ds_store_2addr_b64 v70, v[6:7], v[122:123] offset1:3
	ds_store_2addr_b64 v70, v[168:169], v[92:93] offset0:6 offset1:9
	ds_store_b64 v70, v[84:85] offset:96
	ds_store_2addr_b64 v47, v[77:78], v[112:113] offset1:3
	ds_store_2addr_b64 v47, v[86:87], v[108:109] offset0:6 offset1:9
	ds_store_b64 v47, v[102:103] offset:96
	;; [unrolled: 3-line block ×6, first 2 shown]
	v_add_f64_e32 v[77:78], v[204:205], v[44:45]
	v_add_f64_e64 v[14:15], v[26:27], -v[14:15]
	v_fma_f64 v[24:25], v[24:25], -0.5, v[204:205]
	v_fma_f64 v[22:23], v[166:167], -0.5, v[204:205]
	v_add_f64_e32 v[90:91], v[251:252], v[66:67]
	v_add_f64_e64 v[0:1], v[0:1], -v[54:55]
	v_add_f64_e64 v[4:5], v[4:5], -v[8:9]
	v_fma_f64 v[54:55], v[172:173], -0.5, v[251:252]
	v_fma_f64 v[10:11], v[10:11], -0.5, v[200:201]
	;; [unrolled: 1-line block ×3, first 2 shown]
	v_add_f64_e64 v[60:61], v[130:131], -v[50:51]
	v_add_f64_e64 v[26:27], v[28:29], -v[32:33]
	v_add_f64_e32 v[84:85], v[120:121], v[50:51]
	v_fma_f64 v[180:181], v[2:3], s[14:15], v[68:69]
	v_fma_f64 v[86:87], v[134:135], s[12:13], v[174:175]
	;; [unrolled: 1-line block ×3, first 2 shown]
	v_add_f64_e64 v[50:51], v[50:51], -v[130:131]
	v_fma_f64 v[94:95], v[58:59], s[14:15], v[176:177]
	v_fma_f64 v[98:99], v[58:59], s[12:13], v[176:177]
	v_add_f64_e64 v[102:103], v[32:33], -v[28:29]
	v_fma_f64 v[6:7], v[160:161], s[14:15], v[156:157]
	v_fma_f64 v[92:93], v[134:135], s[14:15], v[174:175]
	v_add_f64_e64 v[104:105], v[62:63], -v[128:129]
	v_add_f64_e64 v[108:109], v[30:31], -v[36:37]
	v_add_f64_e32 v[41:42], v[41:42], v[128:129]
	v_fma_f64 v[110:111], v[136:137], s[12:13], v[162:163]
	v_add_f64_e32 v[48:49], v[48:49], v[106:107]
	v_fma_f64 v[106:107], v[218:219], s[16:17], v[146:147]
	v_add_f64_e64 v[62:63], v[128:129], -v[62:63]
	v_fma_f64 v[114:115], v[34:35], s[14:15], v[178:179]
	v_fma_f64 v[116:117], v[34:35], s[12:13], v[178:179]
	v_add_f64_e64 v[118:119], v[36:37], -v[30:31]
	v_add_f64_e64 v[120:121], v[56:57], -v[64:65]
	v_add_f64_e32 v[20:21], v[20:21], v[64:65]
	v_add_f64_e64 v[56:57], v[64:65], -v[56:57]
	v_fma_f64 v[124:125], v[16:17], s[14:15], v[164:165]
	v_fma_f64 v[126:127], v[16:17], s[12:13], v[164:165]
	v_add_f64_e64 v[128:129], v[96:97], -v[80:81]
	v_add_f64_e64 v[130:131], v[44:45], -v[100:101]
	v_add_f64_e32 v[77:78], v[77:78], v[100:101]
	v_add_f64_e64 v[43:44], v[100:101], -v[44:45]
	v_fma_f64 v[100:101], v[14:15], s[12:13], v[24:25]
	v_fma_f64 v[24:25], v[14:15], s[14:15], v[24:25]
	;; [unrolled: 1-line block ×4, first 2 shown]
	v_add_f64_e64 v[142:143], v[88:89], -v[82:83]
	v_add_f64_e64 v[146:147], v[66:67], -v[71:72]
	v_add_f64_e32 v[90:91], v[90:91], v[71:72]
	v_add_f64_e64 v[66:67], v[71:72], -v[66:67]
	v_add_f64_e64 v[71:72], v[73:74], -v[75:76]
	v_fma_f64 v[152:153], v[4:5], s[14:15], v[54:55]
	v_fma_f64 v[54:55], v[4:5], s[12:13], v[54:55]
	;; [unrolled: 1-line block ×3, first 2 shown]
	v_add_f64_e64 v[122:123], v[80:81], -v[96:97]
	v_fma_f64 v[64:65], v[12:13], s[12:13], v[10:11]
	v_fma_f64 v[10:11], v[12:13], s[14:15], v[10:11]
	v_add_f64_e64 v[132:133], v[82:83], -v[88:89]
	v_add_f64_e64 v[148:149], v[75:76], -v[73:74]
	v_fma_f64 v[150:151], v[0:1], s[12:13], v[8:9]
	v_fma_f64 v[8:9], v[0:1], s[14:15], v[8:9]
	v_add_f64_e32 v[26:27], v[60:61], v[26:27]
	v_fma_f64 v[60:61], v[58:59], s[6:7], v[86:87]
	v_add_f64_e32 v[32:33], v[84:85], v[32:33]
	v_add_f64_e32 v[52:53], v[52:53], v[191:192]
	v_fma_f64 v[158:159], v[160:161], s[6:7], v[180:181]
	v_fma_f64 v[68:69], v[160:161], s[2:3], v[68:69]
	v_add_f64_e32 v[50:51], v[50:51], v[102:103]
	v_fma_f64 v[84:85], v[134:135], s[6:7], v[94:95]
	v_fma_f64 v[86:87], v[134:135], s[2:3], v[98:99]
	;; [unrolled: 1-line block ×4, first 2 shown]
	v_add_f64_e32 v[92:93], v[104:105], v[108:109]
	v_fma_f64 v[94:95], v[34:35], s[6:7], v[110:111]
	v_add_f64_e32 v[36:37], v[41:42], v[36:37]
	v_add_f64_e32 v[41:42], v[62:63], v[118:119]
	v_fma_f64 v[62:63], v[136:137], s[6:7], v[114:115]
	v_fma_f64 v[98:99], v[136:137], s[2:3], v[116:117]
	v_add_f64_e32 v[20:21], v[20:21], v[96:97]
	v_add_f64_e32 v[56:57], v[56:57], v[128:129]
	v_fma_f64 v[96:97], v[12:13], s[6:7], v[124:125]
	v_fma_f64 v[12:13], v[12:13], s[2:3], v[126:127]
	v_fma_f64 v[100:101], v[18:19], s[6:7], v[100:101]
	v_fma_f64 v[18:19], v[18:19], s[2:3], v[24:25]
	v_add_f64_e32 v[24:25], v[77:78], v[88:89]
	v_add_f64_e32 v[43:44], v[43:44], v[142:143]
	v_fma_f64 v[77:78], v[14:15], s[6:7], v[138:139]
	v_fma_f64 v[14:15], v[14:15], s[2:3], v[22:23]
	v_add_f64_e32 v[73:74], v[90:91], v[73:74]
	v_add_f64_e32 v[66:67], v[66:67], v[71:72]
	v_fma_f64 v[88:89], v[0:1], s[6:7], v[152:153]
	v_fma_f64 v[54:55], v[0:1], s[2:3], v[54:55]
	;; [unrolled: 1-line block ×3, first 2 shown]
	v_add_f64_e32 v[102:103], v[120:121], v[122:123]
	v_fma_f64 v[64:65], v[16:17], s[6:7], v[64:65]
	v_fma_f64 v[16:17], v[16:17], s[2:3], v[10:11]
	v_add_f64_e32 v[104:105], v[130:131], v[132:133]
	v_add_f64_e32 v[22:23], v[146:147], v[148:149]
	v_fma_f64 v[90:91], v[4:5], s[2:3], v[8:9]
	v_fma_f64 v[71:72], v[4:5], s[6:7], v[150:151]
	;; [unrolled: 1-line block ×3, first 2 shown]
	v_add_f64_e32 v[110:111], v[32:33], v[28:29]
	v_mul_lo_u16 v45, 0x89, v190
	v_fma_f64 v[108:109], v[52:53], s[16:17], v[158:159]
	v_fma_f64 v[52:53], v[52:53], s[16:17], v[68:69]
	global_wb scope:SCOPE_SE
	s_wait_dscnt 0x0
	v_fma_f64 v[84:85], v[50:51], s[16:17], v[84:85]
	v_fma_f64 v[50:51], v[50:51], s[16:17], v[86:87]
	;; [unrolled: 1-line block ×4, first 2 shown]
	s_barrier_signal -1
	v_fma_f64 v[86:87], v[92:93], s[16:17], v[94:95]
	v_add_f64_e32 v[36:37], v[36:37], v[30:31]
	s_barrier_wait -1
	v_fma_f64 v[62:63], v[41:42], s[16:17], v[62:63]
	v_fma_f64 v[41:42], v[41:42], s[16:17], v[98:99]
	v_add_f64_e32 v[79:80], v[20:21], v[80:81]
	global_inv scope:SCOPE_SE
	v_fma_f64 v[94:95], v[56:57], s[16:17], v[96:97]
	v_fma_f64 v[56:57], v[56:57], s[16:17], v[12:13]
	ds_load_b64 v[140:141], v226
	ds_load_b64 v[148:149], v247
	;; [unrolled: 1-line block ×7, first 2 shown]
	ds_load_b64 v[154:155], v226 offset:29000
	ds_load_2addr_b64 v[8:11], v227 offset0:95 offset1:220
	ds_load_2addr_b64 v[0:3], v231 offset0:77 offset1:202
	;; [unrolled: 1-line block ×3, first 2 shown]
	v_add_f64_e32 v[81:82], v[24:25], v[82:83]
	v_lshrrev_b16 v194, 11, v45
	v_fma_f64 v[77:78], v[43:44], s[16:17], v[77:78]
	v_fma_f64 v[43:44], v[43:44], s[16:17], v[14:15]
	v_add_f64_e32 v[73:74], v[73:74], v[75:76]
	v_fma_f64 v[75:76], v[66:67], s[16:17], v[88:89]
	v_fma_f64 v[54:55], v[66:67], s[16:17], v[54:55]
	;; [unrolled: 1-line block ×9, first 2 shown]
	ds_load_2addr_b64 v[116:119], v229 offset0:107 offset1:232
	ds_load_2addr_b64 v[112:115], v232 offset0:89 offset1:214
	;; [unrolled: 1-line block ×8, first 2 shown]
	global_wb scope:SCOPE_SE
	s_wait_dscnt 0x0
	s_barrier_signal -1
	s_barrier_wait -1
	global_inv scope:SCOPE_SE
	ds_store_2addr_b64 v70, v[48:49], v[106:107] offset1:3
	ds_store_2addr_b64 v70, v[108:109], v[52:53] offset0:6 offset1:9
	ds_store_b64 v70, v[68:69] offset:96
	ds_store_2addr_b64 v47, v[110:111], v[60:61] offset1:3
	ds_store_2addr_b64 v47, v[84:85], v[50:51] offset0:6 offset1:9
	ds_store_b64 v47, v[58:59] offset:96
	ds_store_2addr_b64 v46, v[36:37], v[86:87] offset1:3
	v_mul_u32_u24_e32 v36, 0x8889, v189
	ds_store_2addr_b64 v46, v[62:63], v[41:42] offset0:6 offset1:9
	ds_store_b64 v46, v[92:93] offset:96
	ds_store_2addr_b64 v39, v[79:80], v[64:65] offset1:3
	v_lshrrev_b32_e32 v191, 19, v36
	v_mul_lo_u16 v36, v194, 15
	ds_store_2addr_b64 v39, v[94:95], v[56:57] offset0:6 offset1:9
	ds_store_b64 v39, v[96:97] offset:96
	ds_store_2addr_b64 v38, v[81:82], v[98:99] offset1:3
	ds_store_2addr_b64 v38, v[77:78], v[43:44] offset0:6 offset1:9
	ds_store_b64 v38, v[100:101] offset:96
	ds_store_2addr_b64 v40, v[73:74], v[71:72] offset1:3
	v_mul_lo_u16 v37, v191, 15
	v_sub_nc_u16 v36, v216, v36
	ds_store_2addr_b64 v40, v[75:76], v[54:55] offset0:6 offset1:9
	ds_store_b64 v40, v[66:67] offset:96
	global_wb scope:SCOPE_SE
	s_wait_dscnt 0x0
	s_barrier_signal -1
	v_sub_nc_u16 v37, v217, v37
	v_and_b32_e32 v192, 0xff, v36
	v_mul_u32_u24_e32 v36, 0x8889, v185
	s_barrier_wait -1
	global_inv scope:SCOPE_SE
	v_and_b32_e32 v193, 0xffff, v37
	v_lshlrev_b32_e32 v40, 6, v192
	v_lshrrev_b32_e32 v195, 19, v36
	v_mul_u32_u24_e32 v42, 0x8889, v186
	v_mul_lo_u16 v46, 0x89, v187
	v_lshlrev_b32_e32 v44, 6, v193
	s_clause 0x3
	global_load_b128 v[120:123], v40, s[4:5] offset:192
	global_load_b128 v[124:127], v44, s[4:5] offset:192
	;; [unrolled: 1-line block ×4, first 2 shown]
	v_mul_lo_u16 v41, v195, 15
	v_lshrrev_b32_e32 v198, 19, v42
	s_clause 0x2
	global_load_b128 v[211:214], v40, s[4:5] offset:224
	global_load_b128 v[36:39], v44, s[4:5] offset:224
	;; [unrolled: 1-line block ×3, first 2 shown]
	v_sub_nc_u16 v41, v224, v41
	v_mul_lo_u16 v45, v198, 15
	v_lshrrev_b16 v254, 11, v46
	s_delay_alu instid0(VALU_DEP_3) | instskip(SKIP_4) | instid1(VALU_DEP_3)
	v_and_b32_e32 v251, 0xffff, v41
	global_load_b128 v[40:43], v40, s[4:5] offset:240
	v_sub_nc_u16 v52, v225, v45
	v_mul_lo_u16 v53, v254, 15
	v_lshlrev_b32_e32 v68, 6, v251
	v_and_b32_e32 v252, 0xffff, v52
	s_delay_alu instid0(VALU_DEP_3)
	v_sub_nc_u16 v52, v209, v53
	global_load_b128 v[44:47], v68, s[4:5] offset:192
	v_lshlrev_b32_e32 v69, 6, v252
	v_and_b32_e32 v253, 0xff, v52
	global_load_b128 v[52:55], v69, s[4:5] offset:192
	v_lshlrev_b32_e32 v70, 6, v253
	s_clause 0x5
	global_load_b128 v[60:63], v70, s[4:5] offset:192
	global_load_b128 v[56:59], v68, s[4:5] offset:208
	;; [unrolled: 1-line block ×6, first 2 shown]
	v_mul_u32_u24_e32 v70, 0x8889, v184
	s_clause 0x3
	global_load_b128 v[84:87], v68, s[4:5] offset:224
	global_load_b128 v[80:83], v69, s[4:5] offset:224
	;; [unrolled: 1-line block ×4, first 2 shown]
	v_lshrrev_b32_e32 v255, 19, v70
	s_delay_alu instid0(VALU_DEP_1) | instskip(NEXT) | instid1(VALU_DEP_1)
	v_mul_lo_u16 v70, v255, 15
	v_sub_nc_u16 v70, v236, v70
	s_delay_alu instid0(VALU_DEP_1) | instskip(NEXT) | instid1(VALU_DEP_1)
	v_and_b32_e32 v199, 0xffff, v70
	v_lshlrev_b32_e32 v108, 6, v199
	s_clause 0x3
	global_load_b128 v[92:95], v108, s[4:5] offset:192
	global_load_b128 v[68:71], v108, s[4:5] offset:208
	;; [unrolled: 1-line block ×4, first 2 shown]
	ds_load_2addr_b64 v[160:163], v229 offset0:107 offset1:232
	ds_load_2addr_b64 v[218:221], v232 offset0:89 offset1:214
	;; [unrolled: 1-line block ×5, first 2 shown]
	s_wait_loadcnt_dscnt 0x1704
	v_mul_f64_e32 v[158:159], v[160:161], v[122:123]
	v_mul_f64_e32 v[122:123], v[116:117], v[122:123]
	s_wait_loadcnt 0x16
	v_mul_f64_e32 v[168:169], v[162:163], v[126:127]
	v_mul_f64_e32 v[126:127], v[118:119], v[126:127]
	s_wait_loadcnt_dscnt 0x1503
	v_mul_f64_e32 v[186:187], v[218:219], v[166:167]
	s_wait_loadcnt 0x14
	v_mul_f64_e32 v[238:239], v[220:221], v[204:205]
	v_mul_f64_e32 v[200:201], v[112:113], v[166:167]
	;; [unrolled: 1-line block ×3, first 2 shown]
	s_wait_loadcnt_dscnt 0x1302
	v_mul_f64_e32 v[241:242], v[136:137], v[213:214]
	v_mul_f64_e32 v[213:214], v[32:33], v[213:214]
	s_wait_loadcnt 0x12
	v_mul_f64_e32 v[184:185], v[138:139], v[38:39]
	v_mul_f64_e32 v[182:183], v[34:35], v[38:39]
	s_wait_loadcnt_dscnt 0x1101
	v_mul_f64_e32 v[174:175], v[134:135], v[50:51]
	v_mul_f64_e32 v[170:171], v[30:31], v[50:51]
	s_wait_loadcnt 0x10
	v_mul_f64_e32 v[172:173], v[132:133], v[42:43]
	v_mul_f64_e32 v[178:179], v[28:29], v[42:43]
	s_wait_loadcnt_dscnt 0xf00
	v_mul_f64_e32 v[176:177], v[128:129], v[46:47]
	v_mul_f64_e32 v[180:181], v[24:25], v[46:47]
	v_fma_f64 v[166:167], v[116:117], v[120:121], v[158:159]
	v_fma_f64 v[158:159], v[160:161], v[120:121], -v[122:123]
	v_fma_f64 v[160:161], v[118:119], v[124:125], v[168:169]
	v_fma_f64 v[38:39], v[162:163], v[124:125], -v[126:127]
	v_fma_f64 v[162:163], v[112:113], v[164:165], v[186:187]
	ds_load_b64 v[168:169], v245
	v_fma_f64 v[50:51], v[114:115], v[202:203], v[238:239]
	ds_load_2addr_b64 v[112:115], v230 offset0:59 offset1:184
	ds_load_2addr_b64 v[116:119], v243 offset0:83 offset1:208
	;; [unrolled: 1-line block ×4, first 2 shown]
	v_fma_f64 v[46:47], v[218:219], v[164:165], -v[200:201]
	v_fma_f64 v[42:43], v[220:221], v[202:203], -v[204:205]
	s_wait_loadcnt 0xe
	v_mul_f64_e32 v[186:187], v[130:131], v[54:55]
	v_fma_f64 v[164:165], v[32:33], v[211:212], v[241:242]
	v_fma_f64 v[32:33], v[136:137], v[211:212], -v[213:214]
	v_mul_f64_e32 v[54:55], v[26:27], v[54:55]
	v_fma_f64 v[136:137], v[34:35], v[36:37], v[184:185]
	v_fma_f64 v[36:37], v[138:139], v[36:37], -v[182:183]
	v_fma_f64 v[204:205], v[28:29], v[40:41], v[172:173]
	v_fma_f64 v[34:35], v[132:133], v[40:41], -v[178:179]
	;; [unrolled: 2-line block ×3, first 2 shown]
	ds_load_2addr_b64 v[172:175], v244 offset0:65 offset1:190
	ds_load_2addr_b64 v[132:135], v240 offset0:47 offset1:172
	v_fma_f64 v[170:171], v[24:25], v[44:45], v[176:177]
	s_wait_loadcnt_dscnt 0xd06
	v_mul_f64_e32 v[202:203], v[168:169], v[62:63]
	v_mul_f64_e32 v[62:63], v[156:157], v[62:63]
	s_wait_loadcnt_dscnt 0xb05
	v_mul_f64_e32 v[182:183], v[114:115], v[66:67]
	s_wait_dscnt 0x4
	v_mul_f64_e32 v[138:139], v[116:117], v[58:59]
	v_mul_f64_e32 v[58:59], v[20:21], v[58:59]
	s_wait_loadcnt_dscnt 0xa03
	v_mul_f64_e32 v[40:41], v[122:123], v[106:107]
	s_wait_loadcnt_dscnt 0x902
	v_mul_f64_e32 v[178:179], v[126:127], v[102:103]
	s_wait_loadcnt 0x8
	v_mul_f64_e32 v[48:49], v[118:119], v[74:75]
	v_mul_f64_e32 v[106:107], v[10:11], v[106:107]
	v_fma_f64 v[30:31], v[128:129], v[44:45], -v[180:181]
	v_mul_f64_e32 v[44:45], v[2:3], v[102:103]
	ds_load_b64 v[200:201], v246
	ds_load_b64 v[184:185], v226 offset:29000
	ds_load_b64 v[102:103], v226
	v_mul_f64_e32 v[74:75], v[22:23], v[74:75]
	v_mul_f64_e32 v[66:67], v[6:7], v[66:67]
	s_wait_loadcnt_dscnt 0x704
	v_mul_f64_e32 v[128:129], v[172:173], v[86:87]
	v_fma_f64 v[26:27], v[26:27], v[52:53], v[186:187]
	v_fma_f64 v[24:25], v[130:131], v[52:53], -v[54:55]
	v_mul_f64_e32 v[52:53], v[16:17], v[86:87]
	s_wait_loadcnt_dscnt 0x503
	v_mul_f64_e32 v[130:131], v[132:133], v[78:79]
	v_mul_f64_e32 v[54:55], v[174:175], v[82:83]
	;; [unrolled: 1-line block ×3, first 2 shown]
	v_fma_f64 v[86:87], v[156:157], v[60:61], v[202:203]
	v_fma_f64 v[60:61], v[168:169], v[60:61], -v[62:63]
	v_mul_f64_e32 v[62:63], v[12:13], v[78:79]
	v_fma_f64 v[78:79], v[6:7], v[64:65], v[182:183]
	s_wait_loadcnt 0x4
	v_mul_f64_e32 v[156:157], v[134:135], v[90:91]
	v_fma_f64 v[138:139], v[20:21], v[56:57], v[138:139]
	v_fma_f64 v[40:41], v[10:11], v[104:105], v[40:41]
	;; [unrolled: 1-line block ×3, first 2 shown]
	v_fma_f64 v[10:11], v[116:117], v[56:57], -v[58:59]
	s_wait_loadcnt 0x3
	v_mul_f64_e32 v[56:57], v[120:121], v[94:95]
	v_mul_f64_e32 v[58:59], v[8:9], v[94:95]
	v_fma_f64 v[22:23], v[22:23], v[72:73], v[48:49]
	s_wait_loadcnt 0x2
	v_mul_f64_e32 v[48:49], v[124:125], v[70:71]
	s_wait_loadcnt 0x1
	v_mul_f64_e32 v[94:95], v[112:113], v[98:99]
	v_fma_f64 v[104:105], v[122:123], v[104:105], -v[106:107]
	s_wait_loadcnt_dscnt 0x1
	v_mul_f64_e32 v[106:107], v[184:185], v[110:111]
	v_fma_f64 v[100:101], v[126:127], v[100:101], -v[44:45]
	v_mul_f64_e32 v[44:45], v[4:5], v[98:99]
	v_mul_f64_e32 v[70:71], v[0:1], v[70:71]
	;; [unrolled: 1-line block ×4, first 2 shown]
	v_fma_f64 v[64:65], v[114:115], v[64:65], -v[66:67]
	v_fma_f64 v[20:21], v[118:119], v[72:73], -v[74:75]
	v_fma_f64 v[72:73], v[16:17], v[84:85], v[128:129]
	v_add_f64_e64 v[202:203], v[42:43], -v[36:37]
	v_add_f64_e64 v[127:128], v[38:39], -v[28:29]
	;; [unrolled: 1-line block ×3, first 2 shown]
	v_fma_f64 v[6:7], v[172:173], v[84:85], -v[52:53]
	v_fma_f64 v[116:117], v[12:13], v[76:77], v[130:131]
	v_fma_f64 v[18:19], v[18:19], v[80:81], v[54:55]
	v_add_f64_e32 v[84:85], v[162:163], v[164:165]
	v_fma_f64 v[2:3], v[174:175], v[80:81], -v[82:83]
	v_add_f64_e64 v[82:83], v[166:167], -v[162:163]
	v_fma_f64 v[16:17], v[132:133], v[76:77], -v[62:63]
	v_add_f64_e32 v[66:67], v[86:87], v[78:79]
	v_fma_f64 v[54:55], v[14:15], v[88:89], v[156:157]
	v_add_f64_e64 v[129:130], v[170:171], -v[138:139]
	v_add_f64_e64 v[76:77], v[40:41], -v[86:87]
	v_add_f64_e32 v[52:53], v[40:41], v[168:169]
	v_add_f64_e64 v[74:75], v[78:79], -v[168:169]
	v_fma_f64 v[8:9], v[8:9], v[92:93], v[56:57]
	v_fma_f64 v[56:57], v[120:121], v[92:93], -v[58:59]
	v_add_f64_e64 v[80:81], v[168:169], -v[78:79]
	v_fma_f64 v[58:59], v[0:1], v[68:69], v[48:49]
	v_add_f64_e32 v[48:49], v[166:167], v[204:205]
	v_fma_f64 v[4:5], v[4:5], v[96:97], v[94:95]
	v_fma_f64 v[62:63], v[154:155], v[108:109], v[106:107]
	v_add_f64_e32 v[94:95], v[160:161], v[211:212]
	v_fma_f64 v[0:1], v[112:113], v[96:97], -v[44:45]
	v_add_f64_e32 v[44:45], v[140:141], v[86:87]
	v_fma_f64 v[68:69], v[124:125], v[68:69], -v[70:71]
	v_fma_f64 v[14:15], v[184:185], v[108:109], -v[98:99]
	v_add_f64_e64 v[70:71], v[86:87], -v[40:41]
	v_add_f64_e32 v[108:109], v[50:51], v[136:137]
	v_fma_f64 v[12:13], v[134:135], v[88:89], -v[90:91]
	v_add_f64_e64 v[88:89], v[204:205], -v[164:165]
	v_add_f64_e64 v[106:107], v[104:105], -v[100:101]
	v_add_f64_e32 v[123:124], v[138:139], v[72:73]
	v_add_f64_e64 v[90:91], v[162:163], -v[166:167]
	v_add_f64_e64 v[92:93], v[164:165], -v[204:205]
	;; [unrolled: 1-line block ×3, first 2 shown]
	v_add_f64_e32 v[114:115], v[170:171], v[116:117]
	v_add_f64_e64 v[98:99], v[211:212], -v[136:137]
	v_add_f64_e64 v[118:119], v[60:61], -v[64:65]
	;; [unrolled: 1-line block ×5, first 2 shown]
	v_add_f64_e32 v[220:221], v[22:23], v[18:19]
	v_add_f64_e64 v[121:122], v[158:159], -v[34:35]
	v_fma_f64 v[84:85], v[84:85], -0.5, v[152:153]
	v_add_f64_e64 v[154:155], v[72:73], -v[116:117]
	v_add_f64_e64 v[186:187], v[40:41], -v[168:169]
	v_fma_f64 v[66:67], v[66:67], -0.5, v[140:141]
	v_add_f64_e32 v[131:132], v[26:27], v[54:55]
	v_add_f64_e64 v[172:173], v[54:55], -v[18:19]
	v_add_f64_e64 v[174:175], v[22:23], -v[26:27]
	v_fma_f64 v[52:53], v[52:53], -0.5, v[140:141]
	v_add_f64_e64 v[140:141], v[138:139], -v[170:171]
	v_add_f64_e64 v[176:177], v[18:19], -v[54:55]
	;; [unrolled: 1-line block ×3, first 2 shown]
	v_add_f64_e32 v[76:77], v[76:77], v[80:81]
	v_add_f64_e64 v[178:179], v[8:9], -v[58:59]
	v_fma_f64 v[48:49], v[48:49], -0.5, v[152:153]
	v_add_f64_e64 v[182:183], v[58:59], -v[8:9]
	v_add_f64_e64 v[180:181], v[62:63], -v[4:5]
	;; [unrolled: 1-line block ×3, first 2 shown]
	v_add_f64_e32 v[152:153], v[152:153], v[166:167]
	v_add_f64_e32 v[40:41], v[44:45], v[40:41]
	v_fma_f64 v[44:45], v[94:95], -0.5, v[148:149]
	v_add_f64_e32 v[94:95], v[58:59], v[4:5]
	v_add_f64_e32 v[70:71], v[70:71], v[74:75]
	;; [unrolled: 1-line block ×3, first 2 shown]
	v_fma_f64 v[108:109], v[108:109], -0.5, v[148:149]
	v_add_f64_e32 v[148:149], v[148:149], v[160:161]
	v_add_f64_e32 v[82:83], v[82:83], v[88:89]
	v_add_f64_e64 v[218:219], v[10:11], -v[6:7]
	v_add_f64_e64 v[112:113], v[136:137], -v[211:212]
	;; [unrolled: 1-line block ×3, first 2 shown]
	v_add_f64_e32 v[90:91], v[90:91], v[92:93]
	v_fma_f64 v[80:81], v[114:115], -0.5, v[150:151]
	v_fma_f64 v[114:115], v[123:124], -0.5, v[150:151]
	v_add_f64_e32 v[150:151], v[150:151], v[170:171]
	v_add_f64_e32 v[96:97], v[96:97], v[98:99]
	;; [unrolled: 1-line block ×4, first 2 shown]
	v_add_f64_e64 v[133:134], v[24:25], -v[12:13]
	v_add_f64_e32 v[123:124], v[104:105], v[100:101]
	v_add_f64_e32 v[241:242], v[142:143], v[8:9]
	v_add_f64_e64 v[86:87], v[86:87], -v[78:79]
	v_lshl_add_u32 v120, v188, 3, 0
	v_fma_f64 v[88:89], v[106:107], s[12:13], v[66:67]
	v_fma_f64 v[66:67], v[106:107], s[14:15], v[66:67]
	v_fma_f64 v[131:132], v[131:132], -0.5, v[146:147]
	v_add_f64_e32 v[156:157], v[156:157], v[172:173]
	v_fma_f64 v[92:93], v[118:119], s[14:15], v[52:53]
	v_fma_f64 v[52:53], v[118:119], s[12:13], v[52:53]
	v_fma_f64 v[146:147], v[220:221], -0.5, v[146:147]
	v_add_f64_e32 v[140:141], v[140:141], v[154:155]
	v_add_f64_e64 v[154:155], v[56:57], -v[14:15]
	v_add_f64_e32 v[174:175], v[174:175], v[176:177]
	v_fma_f64 v[172:173], v[125:126], s[12:13], v[48:49]
	v_fma_f64 v[48:49], v[125:126], s[14:15], v[48:49]
	v_add_f64_e32 v[178:179], v[178:179], v[180:181]
	v_fma_f64 v[180:181], v[121:122], s[14:15], v[84:85]
	v_fma_f64 v[84:85], v[121:122], s[12:13], v[84:85]
	v_add_f64_e32 v[182:183], v[182:183], v[184:185]
	v_fma_f64 v[184:185], v[202:203], s[12:13], v[44:45]
	v_fma_f64 v[94:95], v[94:95], -0.5, v[142:143]
	v_add_f64_e64 v[176:177], v[68:69], -v[0:1]
	v_fma_f64 v[74:75], v[74:75], -0.5, v[142:143]
	v_fma_f64 v[142:143], v[127:128], s[14:15], v[108:109]
	v_fma_f64 v[196:197], v[127:128], s[12:13], v[108:109]
	v_add_f64_e32 v[152:153], v[152:153], v[162:163]
	v_fma_f64 v[44:45], v[202:203], s[14:15], v[44:45]
	v_add_f64_e32 v[148:149], v[148:149], v[50:51]
	v_add_f64_e32 v[168:169], v[40:41], v[168:169]
	;; [unrolled: 1-line block ×3, first 2 shown]
	v_fma_f64 v[40:41], v[218:219], s[12:13], v[80:81]
	v_fma_f64 v[80:81], v[218:219], s[14:15], v[80:81]
	v_add_f64_e32 v[150:151], v[150:151], v[138:139]
	s_wait_dscnt 0x0
	v_add_f64_e32 v[220:221], v[102:103], v[60:61]
	v_add_f64_e32 v[98:99], v[98:99], v[22:23]
	v_and_b32_e32 v110, 0xffff, v254
	v_lshlrev_b32_e32 v135, 3, v252
	v_fma_f64 v[206:207], v[123:124], -0.5, v[102:103]
	v_add_f64_e32 v[241:242], v[241:242], v[58:59]
	v_add_f64_e64 v[26:27], v[26:27], -v[54:55]
	v_add_f64_e64 v[8:9], v[8:9], -v[62:63]
	v_fma_f64 v[88:89], v[118:119], s[2:3], v[88:89]
	v_fma_f64 v[66:67], v[118:119], s[6:7], v[66:67]
	;; [unrolled: 1-line block ×8, first 2 shown]
	v_and_b32_e32 v115, 0xffff, v194
	v_add_nc_u32_e32 v109, 0x2c00, v226
	v_fma_f64 v[172:173], v[121:122], s[2:3], v[172:173]
	v_fma_f64 v[144:145], v[121:122], s[6:7], v[48:49]
	;; [unrolled: 1-line block ×9, first 2 shown]
	v_lshlrev_b32_e32 v121, 3, v193
	v_fma_f64 v[142:143], v[202:203], s[2:3], v[142:143]
	v_fma_f64 v[196:197], v[202:203], s[6:7], v[196:197]
	;; [unrolled: 1-line block ×4, first 2 shown]
	v_add_f64_e32 v[152:153], v[152:153], v[164:165]
	v_fma_f64 v[126:127], v[127:128], s[6:7], v[44:45]
	v_add_f64_e32 v[148:149], v[148:149], v[136:137]
	v_fma_f64 v[222:223], v[213:214], s[2:3], v[40:41]
	v_fma_f64 v[80:81], v[213:214], s[6:7], v[80:81]
	v_add_f64_e32 v[150:151], v[150:151], v[72:73]
	v_mul_u32_u24_e32 v44, 0x258, v115
	v_add_f64_e32 v[98:99], v[98:99], v[18:19]
	v_lshlrev_b32_e32 v45, 3, v192
	v_mul_u32_u24_e32 v115, 0x258, v191
	v_add_f64_e32 v[78:79], v[168:169], v[78:79]
	v_add_f64_e32 v[241:242], v[241:242], v[4:5]
	v_mul_u32_u24_e32 v40, 0x258, v110
	v_lshlrev_b32_e32 v41, 3, v253
	v_fma_f64 v[88:89], v[76:77], s[16:17], v[88:89]
	v_fma_f64 v[66:67], v[76:77], s[16:17], v[66:67]
	;; [unrolled: 1-line block ×8, first 2 shown]
	v_add_f64_e32 v[220:221], v[220:221], v[104:105]
	v_add3_u32 v188, 0, v40, v41
	v_fma_f64 v[70:71], v[90:91], s[16:17], v[172:173]
	v_fma_f64 v[90:91], v[90:91], s[16:17], v[144:145]
	;; [unrolled: 1-line block ×9, first 2 shown]
	v_add_f64_e32 v[176:177], v[46:47], v[32:33]
	v_mul_u32_u24_e32 v40, 0x258, v195
	v_lshlrev_b32_e32 v128, 3, v251
	v_fma_f64 v[193:194], v[154:155], s[2:3], v[202:203]
	v_fma_f64 v[74:75], v[154:155], s[6:7], v[74:75]
	v_add_f64_e32 v[154:155], v[60:61], v[64:65]
	v_add_f64_e32 v[152:153], v[152:153], v[204:205]
	;; [unrolled: 1-line block ×3, first 2 shown]
	v_fma_f64 v[111:112], v[111:112], s[16:17], v[126:127]
	v_fma_f64 v[126:127], v[96:97], s[16:17], v[142:143]
	;; [unrolled: 1-line block ×3, first 2 shown]
	v_add_f64_e32 v[150:151], v[150:151], v[116:117]
	v_fma_f64 v[142:143], v[140:141], s[16:17], v[222:223]
	v_fma_f64 v[80:81], v[140:141], s[16:17], v[80:81]
	v_add_f64_e64 v[213:214], v[60:61], -v[104:105]
	v_add3_u32 v48, 0, v40, v128
	v_add_f64_e32 v[98:99], v[98:99], v[54:55]
	v_add_f64_e64 v[60:61], v[104:105], -v[60:61]
	v_add_f64_e64 v[104:105], v[166:167], -v[204:205]
	v_add_f64_e32 v[166:167], v[158:159], v[34:35]
	v_add_f64_e32 v[180:181], v[42:43], v[36:37]
	v_fma_f64 v[118:119], v[129:130], s[16:17], v[118:119]
	v_fma_f64 v[113:114], v[129:130], s[16:17], v[113:114]
	v_add_f64_e32 v[168:169], v[241:242], v[62:63]
	v_add_f64_e64 v[218:219], v[64:65], -v[100:101]
	v_fma_f64 v[106:107], v[174:175], s[16:17], v[106:107]
	v_fma_f64 v[128:129], v[174:175], s[16:17], v[131:132]
	;; [unrolled: 1-line block ×3, first 2 shown]
	v_add3_u32 v45, 0, v44, v45
	v_add3_u32 v44, 0, v115, v121
	v_mul_u32_u24_e32 v115, 0x258, v255
	v_fma_f64 v[130:131], v[156:157], s[16:17], v[191:192]
	v_lshlrev_b32_e32 v195, 3, v199
	v_mul_u32_u24_e32 v41, 0x258, v198
	v_fma_f64 v[124:125], v[156:157], s[16:17], v[124:125]
	ds_load_b64 v[146:147], v247
	ds_load_b64 v[156:157], v248
	;; [unrolled: 1-line block ×4, first 2 shown]
	v_fma_f64 v[140:141], v[178:179], s[16:17], v[184:185]
	v_fma_f64 v[94:95], v[178:179], s[16:17], v[94:95]
	v_add_f64_e32 v[184:185], v[10:11], v[6:7]
	v_add3_u32 v40, 0, v115, v195
	v_add_f64_e32 v[196:197], v[24:25], v[12:13]
	v_fma_f64 v[144:145], v[182:183], s[16:17], v[193:194]
	v_fma_f64 v[74:75], v[182:183], s[16:17], v[74:75]
	v_add_f64_e32 v[182:183], v[38:39], v[28:29]
	v_add_f64_e32 v[192:193], v[30:31], v[16:17]
	;; [unrolled: 1-line block ×3, first 2 shown]
	v_add3_u32 v41, 0, v41, v135
	global_wb scope:SCOPE_SE
	s_wait_dscnt 0x0
	s_barrier_signal -1
	s_barrier_wait -1
	global_inv scope:SCOPE_SE
	ds_store_2addr_b64 v188, v[78:79], v[76:77] offset1:15
	ds_store_2addr_b64 v188, v[88:89], v[66:67] offset0:30 offset1:45
	ds_store_b64 v188, v[52:53] offset:480
	ds_store_2addr_b64 v45, v[152:153], v[92:93] offset1:15
	ds_store_2addr_b64 v45, v[70:71], v[90:91] offset0:30 offset1:45
	ds_store_b64 v45, v[82:83] offset:480
	;; [unrolled: 3-line block ×6, first 2 shown]
	v_add_f64_e32 v[70:71], v[68:69], v[0:1]
	v_add_f64_e32 v[66:67], v[56:57], v[14:15]
	v_fma_f64 v[102:103], v[154:155], -0.5, v[102:103]
	v_add_f64_e32 v[198:199], v[220:221], v[100:101]
	v_add_f64_e64 v[100:101], v[100:101], -v[64:65]
	v_add_f64_e32 v[178:179], v[200:201], v[158:159]
	v_fma_f64 v[52:53], v[176:177], -0.5, v[200:201]
	v_add_f64_e64 v[74:75], v[162:163], -v[164:165]
	v_fma_f64 v[76:77], v[166:167], -0.5, v[200:201]
	v_add_f64_e32 v[78:79], v[146:147], v[38:39]
	v_add_f64_e64 v[80:81], v[160:161], -v[211:212]
	v_fma_f64 v[82:83], v[180:181], -0.5, v[146:147]
	v_add_f64_e64 v[49:50], v[50:51], -v[136:137]
	v_add_f64_e32 v[202:203], v[213:214], v[218:219]
	v_fma_f64 v[133:134], v[186:187], s[6:7], v[133:134]
	v_add_f64_e32 v[88:89], v[156:157], v[30:31]
	v_fma_f64 v[84:85], v[182:183], -0.5, v[146:147]
	v_add_f64_e64 v[90:91], v[170:171], -v[116:117]
	v_fma_f64 v[92:93], v[184:185], -0.5, v[156:157]
	v_add_f64_e64 v[72:73], v[138:139], -v[72:73]
	v_fma_f64 v[94:95], v[192:193], -0.5, v[156:157]
	v_add_f64_e32 v[106:107], v[172:173], v[24:25]
	v_fma_f64 v[54:55], v[194:195], -0.5, v[172:173]
	v_add_f64_e64 v[18:19], v[22:23], -v[18:19]
	v_fma_f64 v[22:23], v[196:197], -0.5, v[172:173]
	v_add_f64_e32 v[118:119], v[174:175], v[56:57]
	v_add_f64_e64 v[4:5], v[58:59], -v[4:5]
	v_add_f64_e64 v[112:113], v[34:35], -v[32:33]
	;; [unrolled: 1-line block ×12, first 2 shown]
	v_fma_f64 v[62:63], v[70:71], -0.5, v[174:175]
	v_fma_f64 v[58:59], v[66:67], -0.5, v[174:175]
	v_fma_f64 v[96:97], v[186:187], s[14:15], v[102:103]
	v_fma_f64 v[98:99], v[186:187], s[12:13], v[102:103]
	v_add_f64_e32 v[60:61], v[60:61], v[100:101]
	v_fma_f64 v[100:101], v[86:87], s[14:15], v[206:207]
	v_add_f64_e64 v[102:103], v[158:159], -v[46:47]
	v_add_f64_e32 v[114:115], v[178:179], v[46:47]
	v_fma_f64 v[116:117], v[104:105], s[12:13], v[52:53]
	v_add_f64_e64 v[46:47], v[46:47], -v[158:159]
	v_add_f64_e64 v[66:67], v[32:33], -v[34:35]
	v_fma_f64 v[51:52], v[104:105], s[14:15], v[52:53]
	v_fma_f64 v[70:71], v[74:75], s[14:15], v[76:77]
	;; [unrolled: 1-line block ×3, first 2 shown]
	v_add_f64_e32 v[78:79], v[78:79], v[42:43]
	v_fma_f64 v[42:43], v[80:81], s[12:13], v[82:83]
	v_fma_f64 v[82:83], v[80:81], s[14:15], v[82:83]
	;; [unrolled: 1-line block ×5, first 2 shown]
	v_add_f64_e64 v[134:135], v[30:31], -v[10:11]
	v_add_f64_e32 v[88:89], v[88:89], v[10:11]
	v_add_f64_e64 v[10:11], v[10:11], -v[30:31]
	v_fma_f64 v[30:31], v[90:91], s[12:13], v[92:93]
	v_fma_f64 v[92:93], v[90:91], s[14:15], v[92:93]
	;; [unrolled: 1-line block ×4, first 2 shown]
	v_add_f64_e32 v[106:107], v[106:107], v[20:21]
	v_add_f64_e64 v[20:21], v[20:21], -v[24:25]
	v_fma_f64 v[24:25], v[26:27], s[12:13], v[54:55]
	v_fma_f64 v[53:54], v[26:27], s[14:15], v[54:55]
	;; [unrolled: 1-line block ×4, first 2 shown]
	v_add_f64_e64 v[158:159], v[14:15], -v[0:1]
	v_add_f64_e32 v[118:119], v[118:119], v[68:69]
	v_add_f64_e64 v[55:56], v[68:69], -v[56:57]
	v_add_f64_e64 v[68:69], v[0:1], -v[14:15]
	v_add_f64_e32 v[38:39], v[38:39], v[130:131]
	v_fma_f64 v[162:163], v[8:9], s[12:13], v[62:63]
	v_fma_f64 v[160:161], v[4:5], s[14:15], v[58:59]
	v_fma_f64 v[57:58], v[4:5], s[12:13], v[58:59]
	v_fma_f64 v[62:63], v[8:9], s[14:15], v[62:63]
	v_fma_f64 v[96:97], v[86:87], s[6:7], v[96:97]
	v_fma_f64 v[86:87], v[86:87], s[2:3], v[98:99]
	v_fma_f64 v[98:99], v[186:187], s[2:3], v[100:101]
	v_add_f64_e32 v[164:165], v[102:103], v[112:113]
	v_add_f64_e32 v[32:33], v[114:115], v[32:33]
	v_fma_f64 v[112:113], v[74:75], s[6:7], v[116:117]
	v_add_f64_e32 v[46:47], v[46:47], v[66:67]
	v_fma_f64 v[51:52], v[74:75], s[2:3], v[51:52]
	v_fma_f64 v[66:67], v[104:105], s[6:7], v[70:71]
	;; [unrolled: 1-line block ×3, first 2 shown]
	v_add_f64_e32 v[74:75], v[124:125], v[126:127]
	v_fma_f64 v[42:43], v[49:50], s[6:7], v[42:43]
	v_add_f64_e32 v[36:37], v[78:79], v[36:37]
	v_fma_f64 v[49:50], v[49:50], s[2:3], v[82:83]
	v_fma_f64 v[76:77], v[80:81], s[6:7], v[128:129]
	;; [unrolled: 1-line block ×3, first 2 shown]
	v_add_f64_e32 v[80:81], v[134:135], v[138:139]
	v_add_f64_e32 v[82:83], v[88:89], v[6:7]
	;; [unrolled: 1-line block ×3, first 2 shown]
	v_fma_f64 v[30:31], v[72:73], s[6:7], v[30:31]
	v_fma_f64 v[72:73], v[72:73], s[2:3], v[92:93]
	;; [unrolled: 1-line block ×4, first 2 shown]
	v_add_f64_e32 v[92:93], v[145:146], v[147:148]
	v_add_f64_e32 v[20:21], v[20:21], v[151:152]
	v_fma_f64 v[24:25], v[18:19], s[6:7], v[24:25]
	v_fma_f64 v[18:19], v[18:19], s[2:3], v[53:54]
	v_add_f64_e32 v[53:54], v[106:107], v[2:3]
	v_fma_f64 v[94:95], v[26:27], s[6:7], v[149:150]
	v_fma_f64 v[22:23], v[26:27], s[2:3], v[22:23]
	v_add_f64_e32 v[26:27], v[156:157], v[158:159]
	v_add_f64_e32 v[116:117], v[118:119], v[0:1]
	;; [unrolled: 1-line block ×4, first 2 shown]
	v_fma_f64 v[118:119], v[4:5], s[6:7], v[162:163]
	v_fma_f64 v[68:69], v[8:9], s[6:7], v[160:161]
	;; [unrolled: 1-line block ×7, first 2 shown]
	v_add_nc_u32_e32 v110, 0x5c00, v226
	v_add_f64_e32 v[32:33], v[32:33], v[34:35]
	v_fma_f64 v[34:35], v[164:165], s[16:17], v[112:113]
	v_add_nc_u32_e32 v121, 0x6400, v226
	v_fma_f64 v[51:52], v[164:165], s[16:17], v[51:52]
	v_fma_f64 v[66:67], v[46:47], s[16:17], v[66:67]
	;; [unrolled: 1-line block ×3, first 2 shown]
	v_add_nc_u32_e32 v111, 0xc00, v226
	v_add_nc_u32_e32 v142, 0x2400, v226
	v_add_f64_e32 v[28:29], v[36:37], v[28:29]
	v_fma_f64 v[36:37], v[74:75], s[16:17], v[42:43]
	v_fma_f64 v[42:43], v[38:39], s[16:17], v[76:77]
	;; [unrolled: 1-line block ×4, first 2 shown]
	v_add_f64_e32 v[70:71], v[82:83], v[16:17]
	v_add_nc_u32_e32 v191, 0x3c00, v226
	v_fma_f64 v[30:31], v[80:81], s[16:17], v[30:31]
	v_fma_f64 v[72:73], v[80:81], s[16:17], v[72:73]
	;; [unrolled: 1-line block ×4, first 2 shown]
	v_add_nc_u32_e32 v255, 0x5400, v226
	v_add_nc_u32_e32 v123, 0x3400, v226
	v_fma_f64 v[78:79], v[92:93], s[16:17], v[24:25]
	v_fma_f64 v[80:81], v[92:93], s[16:17], v[18:19]
	v_add_f64_e32 v[53:54], v[53:54], v[12:13]
	v_fma_f64 v[82:83], v[20:21], s[16:17], v[94:95]
	v_fma_f64 v[84:85], v[20:21], s[16:17], v[22:23]
	v_add_nc_u32_e32 v108, 0x4400, v226
	v_add_f64_e32 v[88:89], v[116:117], v[14:15]
	v_add_nc_u32_e32 v122, 0x4c00, v226
	global_wb scope:SCOPE_SE
	s_wait_dscnt 0x0
	v_fma_f64 v[90:91], v[26:27], s[16:17], v[118:119]
	v_fma_f64 v[68:69], v[55:56], s[16:17], v[68:69]
	;; [unrolled: 1-line block ×3, first 2 shown]
	s_barrier_signal -1
	s_barrier_wait -1
	global_inv scope:SCOPE_SE
	v_add_nc_u32_e32 v198, 0x6c00, v226
	ds_load_b64 v[136:137], v248
	ds_load_b64 v[132:133], v120
	;; [unrolled: 1-line block ×6, first 2 shown]
	ds_load_2addr_b64 v[100:103], v109 offset0:92 offset1:217
	ds_load_2addr_b64 v[8:11], v123 offset0:86 offset1:211
	;; [unrolled: 1-line block ×6, first 2 shown]
	v_fma_f64 v[57:58], v[26:27], s[16:17], v[62:63]
	ds_load_2addr_b64 v[116:119], v111 offset0:116 offset1:241
	ds_load_2addr_b64 v[124:127], v229 offset0:107 offset1:232
	;; [unrolled: 1-line block ×6, first 2 shown]
	global_wb scope:SCOPE_SE
	s_wait_dscnt 0x0
	s_barrier_signal -1
	s_barrier_wait -1
	global_inv scope:SCOPE_SE
	ds_store_2addr_b64 v188, v[64:65], v[154:155] offset1:15
	ds_store_2addr_b64 v188, v[96:97], v[59:60] offset0:30 offset1:45
	ds_store_b64 v188, v[86:87] offset:480
	ds_store_2addr_b64 v45, v[32:33], v[34:35] offset1:15
	v_mul_lo_u16 v32, 0xdb, v190
	v_add_nc_u32_e32 v33, 0xffffffb5, v209
	ds_store_2addr_b64 v45, v[66:67], v[46:47] offset0:30 offset1:45
	ds_store_b64 v45, v[51:52] offset:480
	ds_store_2addr_b64 v44, v[28:29], v[36:37] offset1:15
	v_mov_b32_e32 v129, 0
	v_lshrrev_b16 v251, 14, v32
	v_cndmask_b32_e64 v252, v33, v209, s0
	ds_store_2addr_b64 v44, v[42:43], v[38:39] offset0:30 offset1:45
	ds_store_b64 v44, v[49:50] offset:480
	ds_store_2addr_b64 v48, v[70:71], v[30:31] offset1:15
	ds_store_2addr_b64 v48, v[74:75], v[76:77] offset0:30 offset1:45
	v_mul_lo_u16 v28, 0x4b, v251
	v_mul_i32_i24_e32 v128, 9, v252
	ds_store_b64 v48, v[72:73] offset:480
	ds_store_2addr_b64 v41, v[53:54], v[78:79] offset1:15
	v_sub_nc_u16 v30, v216, v28
	v_lshlrev_b64_e32 v[28:29], 4, v[128:129]
	ds_store_2addr_b64 v41, v[82:83], v[84:85] offset0:30 offset1:45
	ds_store_b64 v41, v[80:81] offset:480
	ds_store_2addr_b64 v40, v[88:89], v[90:91] offset1:15
	ds_store_2addr_b64 v40, v[68:69], v[55:56] offset0:30 offset1:45
	ds_store_b64 v40, v[57:58] offset:480
	v_and_b32_e32 v128, 0xff, v30
	v_add_co_u32 v48, s0, s4, v28
	s_wait_alu 0xf1ff
	v_add_co_ci_u32_e64 v49, s0, s5, v29, s0
	s_delay_alu instid0(VALU_DEP_3)
	v_mul_u32_u24_e32 v28, 9, v128
	global_wb scope:SCOPE_SE
	s_wait_dscnt 0x0
	s_barrier_signal -1
	s_barrier_wait -1
	global_inv scope:SCOPE_SE
	v_lshlrev_b32_e32 v50, 4, v28
	global_load_b128 v[146:149], v[48:49], off offset:1200
	v_mul_u32_u24_e32 v28, 0xb4e9, v189
	s_clause 0x3
	global_load_b128 v[154:157], v[48:49], off offset:1232
	global_load_b128 v[170:173], v[48:49], off offset:1264
	global_load_b128 v[150:153], v50, s[4:5] offset:1200
	global_load_b128 v[166:169], v50, s[4:5] offset:1232
	v_lshrrev_b32_e32 v28, 16, v28
	global_load_b128 v[174:177], v50, s[4:5] offset:1264
	s_mov_b32 s0, 0x9b97f4a8
	s_mov_b32 s1, 0x3fe9e377
	s_wait_alu 0xfffe
	s_mov_b32 s20, s0
	v_sub_nc_u16 v29, v217, v28
	s_delay_alu instid0(VALU_DEP_1) | instskip(NEXT) | instid1(VALU_DEP_1)
	v_lshrrev_b16 v29, 1, v29
	v_add_nc_u16 v28, v29, v28
	s_delay_alu instid0(VALU_DEP_1) | instskip(NEXT) | instid1(VALU_DEP_1)
	v_lshrrev_b16 v253, 6, v28
	v_mul_lo_u16 v28, 0x4b, v253
	s_delay_alu instid0(VALU_DEP_1) | instskip(NEXT) | instid1(VALU_DEP_1)
	v_sub_nc_u16 v28, v217, v28
	v_and_b32_e32 v254, 0xffff, v28
	s_delay_alu instid0(VALU_DEP_1) | instskip(NEXT) | instid1(VALU_DEP_1)
	v_mul_u32_u24_e32 v28, 9, v254
	v_lshlrev_b32_e32 v60, 4, v28
	s_clause 0x14
	global_load_b128 v[192:195], v50, s[4:5] offset:1152
	global_load_b128 v[202:205], v60, s[4:5] offset:1152
	;; [unrolled: 1-line block ×6, first 2 shown]
	global_load_b128 v[28:31], v[48:49], off offset:1216
	global_load_b128 v[36:39], v60, s[4:5] offset:1200
	global_load_b128 v[92:95], v[48:49], off offset:1152
	global_load_b128 v[96:99], v[48:49], off offset:1168
	;; [unrolled: 1-line block ×3, first 2 shown]
	global_load_b128 v[52:55], v50, s[4:5] offset:1216
	global_load_b128 v[76:79], v[48:49], off offset:1248
	global_load_b128 v[88:91], v[48:49], off offset:1280
	global_load_b128 v[84:87], v60, s[4:5] offset:1216
	global_load_b128 v[80:83], v60, s[4:5] offset:1232
	;; [unrolled: 1-line block ×7, first 2 shown]
	ds_load_2addr_b64 v[158:161], v109 offset0:92 offset1:217
	ds_load_2addr_b64 v[178:181], v108 offset0:74 offset1:199
	;; [unrolled: 1-line block ×4, first 2 shown]
	s_wait_loadcnt_dscnt 0x1a03
	v_mul_f64_e32 v[143:144], v[158:159], v[148:149]
	v_mul_f64_e32 v[148:149], v[100:101], v[148:149]
	s_wait_loadcnt_dscnt 0x1902
	v_mul_f64_e32 v[186:187], v[178:179], v[156:157]
	v_mul_f64_e32 v[156:157], v[104:105], v[156:157]
	s_wait_loadcnt 0x17
	v_mul_f64_e32 v[108:109], v[160:161], v[152:153]
	v_mul_f64_e32 v[152:153], v[102:103], v[152:153]
	s_wait_loadcnt 0x16
	v_mul_f64_e32 v[188:189], v[180:181], v[168:169]
	v_mul_f64_e32 v[168:169], v[106:107], v[168:169]
	s_wait_dscnt 0x1
	v_mul_f64_e32 v[196:197], v[182:183], v[172:173]
	v_mul_f64_e32 v[172:173], v[112:113], v[172:173]
	s_wait_loadcnt 0x15
	v_mul_f64_e32 v[199:200], v[114:115], v[176:177]
	s_wait_loadcnt_dscnt 0x1400
	v_mul_f64_e32 v[206:207], v[218:219], v[194:195]
	s_wait_loadcnt 0x13
	v_mul_f64_e32 v[222:223], v[220:221], v[204:205]
	v_mul_f64_e32 v[194:195], v[116:117], v[194:195]
	v_fma_f64 v[164:165], v[100:101], v[146:147], v[143:144]
	v_fma_f64 v[162:163], v[158:159], v[146:147], -v[148:149]
	v_mul_f64_e32 v[143:144], v[184:185], v[176:177]
	v_fma_f64 v[156:157], v[178:179], v[154:155], -v[156:157]
	v_fma_f64 v[158:159], v[102:103], v[150:151], v[108:109]
	ds_load_2addr_b64 v[100:103], v229 offset0:107 offset1:232
	ds_load_2addr_b64 v[108:111], v142 offset0:98 offset1:223
	v_fma_f64 v[148:149], v[160:161], v[150:151], -v[152:153]
	v_fma_f64 v[146:147], v[180:181], v[166:167], -v[168:169]
	;; [unrolled: 1-line block ×3, first 2 shown]
	s_wait_loadcnt 0x11
	v_mul_f64_e32 v[180:181], v[126:127], v[46:47]
	s_wait_loadcnt 0x10
	v_mul_f64_e32 v[178:179], v[24:25], v[34:35]
	;; [unrolled: 2-line block ×3, first 2 shown]
	v_fma_f64 v[160:161], v[104:105], v[154:155], v[186:187]
	v_fma_f64 v[154:155], v[106:107], v[166:167], v[188:189]
	v_mul_f64_e32 v[204:205], v[118:119], v[204:205]
	ds_load_2addr_b64 v[104:107], v123 offset0:86 offset1:211
	v_fma_f64 v[152:153], v[112:113], v[170:171], v[196:197]
	ds_load_b64 v[172:173], v248
	ds_load_b64 v[170:171], v120
	s_wait_loadcnt 0xe
	v_mul_f64_e32 v[188:189], v[10:11], v[30:31]
	s_wait_dscnt 0x4
	v_mul_f64_e32 v[238:239], v[100:101], v[213:214]
	v_mul_f64_e32 v[213:214], v[124:125], v[213:214]
	;; [unrolled: 1-line block ×3, first 2 shown]
	s_wait_dscnt 0x3
	v_mul_f64_e32 v[176:177], v[108:109], v[34:35]
	v_fma_f64 v[46:47], v[184:185], v[174:175], -v[199:200]
	v_mul_f64_e32 v[184:185], v[110:111], v[42:43]
	v_fma_f64 v[168:169], v[116:117], v[192:193], v[206:207]
	v_fma_f64 v[42:43], v[118:119], v[202:203], v[222:223]
	ds_load_2addr_b64 v[116:119], v122 offset0:68 offset1:193
	s_wait_dscnt 0x3
	v_mul_f64_e32 v[186:187], v[106:107], v[30:31]
	v_fma_f64 v[166:167], v[218:219], v[192:193], -v[194:195]
	v_fma_f64 v[142:143], v[114:115], v[174:175], v[143:144]
	ds_load_b64 v[174:175], v245
	ds_load_2addr_b64 v[120:123], v121 offset0:50 offset1:175
	ds_load_2addr_b64 v[112:115], v191 offset0:80 offset1:205
	s_wait_loadcnt 0xd
	v_mul_f64_e32 v[190:191], v[104:105], v[38:39]
	v_mul_f64_e32 v[192:193], v[8:9], v[38:39]
	s_wait_loadcnt_dscnt 0xc05
	v_mul_f64_e32 v[194:195], v[172:173], v[94:95]
	v_add_f64_e64 v[206:207], v[158:159], -v[154:155]
	v_fma_f64 v[30:31], v[220:221], v[202:203], -v[204:205]
	s_wait_loadcnt_dscnt 0xb02
	v_mul_f64_e32 v[144:145], v[174:175], v[98:99]
	v_mul_f64_e32 v[98:99], v[140:141], v[98:99]
	v_fma_f64 v[124:125], v[124:125], v[211:212], v[238:239]
	v_fma_f64 v[38:39], v[100:101], v[211:212], -v[213:214]
	v_mul_f64_e32 v[100:101], v[136:137], v[94:95]
	v_fma_f64 v[34:35], v[126:127], v[44:45], v[241:242]
	v_fma_f64 v[44:45], v[102:103], v[44:45], -v[180:181]
	v_fma_f64 v[24:25], v[24:25], v[32:33], v[176:177]
	v_fma_f64 v[32:33], v[108:109], v[32:33], -v[178:179]
	v_fma_f64 v[26:27], v[26:27], v[40:41], v[184:185]
	s_wait_loadcnt 0xa
	v_mul_f64_e32 v[108:109], v[170:171], v[74:75]
	v_mul_f64_e32 v[74:75], v[132:133], v[74:75]
	v_fma_f64 v[40:41], v[110:111], v[40:41], -v[182:183]
	s_wait_loadcnt 0x8
	v_mul_f64_e32 v[180:181], v[118:119], v[78:79]
	s_wait_loadcnt_dscnt 0x701
	v_mul_f64_e32 v[182:183], v[122:123], v[90:91]
	v_mul_f64_e32 v[78:79], v[2:3], v[78:79]
	;; [unrolled: 1-line block ×3, first 2 shown]
	ds_load_b64 v[94:95], v246
	ds_load_b64 v[126:127], v247
	ds_load_2addr_b64 v[202:205], v255 offset0:62 offset1:187
	ds_load_2addr_b64 v[176:179], v198 offset0:44 offset1:169
	s_wait_dscnt 0x4
	v_mul_f64_e32 v[110:111], v[112:113], v[54:55]
	v_mul_f64_e32 v[54:55], v[20:21], v[54:55]
	v_fma_f64 v[10:11], v[10:11], v[28:29], v[186:187]
	v_fma_f64 v[28:29], v[106:107], v[28:29], -v[188:189]
	s_wait_loadcnt 0x6
	v_mul_f64_e32 v[106:107], v[114:115], v[86:87]
	v_fma_f64 v[8:9], v[8:9], v[36:37], v[190:191]
	v_mul_f64_e32 v[86:87], v[22:23], v[86:87]
	v_fma_f64 v[36:37], v[104:105], v[36:37], -v[192:193]
	s_wait_loadcnt 0x5
	v_mul_f64_e32 v[104:105], v[116:117], v[82:83]
	v_mul_f64_e32 v[82:83], v[0:1], v[82:83]
	v_fma_f64 v[136:137], v[136:137], v[92:93], v[194:195]
	ds_load_b64 v[102:103], v226
	v_add_f64_e32 v[192:193], v[158:159], v[154:155]
	v_add_f64_e64 v[190:191], v[162:163], -v[156:157]
	v_add_f64_e64 v[198:199], v[164:165], -v[160:161]
	;; [unrolled: 1-line block ×3, first 2 shown]
	global_wb scope:SCOPE_SE
	s_wait_loadcnt_dscnt 0x0
	s_barrier_signal -1
	v_mul_f64_e32 v[184:185], v[202:203], v[70:71]
	v_mul_f64_e32 v[70:71], v[16:17], v[70:71]
	;; [unrolled: 1-line block ×4, first 2 shown]
	v_fma_f64 v[92:93], v[172:173], v[92:93], -v[100:101]
	v_mul_f64_e32 v[100:101], v[120:121], v[58:59]
	v_mul_f64_e32 v[58:59], v[4:5], v[58:59]
	v_fma_f64 v[140:141], v[140:141], v[96:97], v[144:145]
	v_mul_f64_e32 v[144:145], v[176:177], v[50:51]
	v_fma_f64 v[96:97], v[174:175], v[96:97], -v[98:99]
	v_mul_f64_e32 v[50:51], v[12:13], v[50:51]
	v_mul_f64_e32 v[98:99], v[178:179], v[62:63]
	;; [unrolled: 1-line block ×3, first 2 shown]
	v_fma_f64 v[108:109], v[132:133], v[72:73], v[108:109]
	v_fma_f64 v[2:3], v[2:3], v[76:77], v[180:181]
	;; [unrolled: 1-line block ×3, first 2 shown]
	v_fma_f64 v[72:73], v[170:171], v[72:73], -v[74:75]
	v_fma_f64 v[74:75], v[118:119], v[76:77], -v[78:79]
	;; [unrolled: 1-line block ×3, first 2 shown]
	v_add_f64_e32 v[182:183], v[134:135], v[124:125]
	v_fma_f64 v[20:21], v[20:21], v[52:53], v[110:111]
	v_fma_f64 v[52:53], v[112:113], v[52:53], -v[54:55]
	v_add_f64_e64 v[180:181], v[158:159], -v[124:125]
	v_add_f64_e32 v[194:195], v[124:125], v[142:143]
	v_fma_f64 v[22:23], v[22:23], v[84:85], v[106:107]
	v_add_f64_e32 v[211:212], v[38:39], v[46:47]
	v_fma_f64 v[54:55], v[114:115], v[84:85], -v[86:87]
	v_add_f64_e64 v[84:85], v[150:151], -v[156:157]
	v_fma_f64 v[0:1], v[0:1], v[80:81], v[104:105]
	v_fma_f64 v[78:79], v[116:117], v[80:81], -v[82:83]
	v_add_f64_e32 v[80:81], v[164:165], v[160:161]
	s_barrier_wait -1
	v_fma_f64 v[192:193], v[192:193], -0.5, v[134:135]
	global_inv scope:SCOPE_SE
	v_fma_f64 v[16:17], v[16:17], v[68:69], v[184:185]
	v_fma_f64 v[68:69], v[202:203], v[68:69], -v[70:71]
	v_fma_f64 v[18:19], v[18:19], v[64:65], v[186:187]
	v_fma_f64 v[64:65], v[204:205], v[64:65], -v[66:67]
	v_add_f64_e64 v[70:71], v[160:161], -v[152:153]
	v_fma_f64 v[4:5], v[4:5], v[56:57], v[100:101]
	v_fma_f64 v[56:57], v[120:121], v[56:57], -v[58:59]
	v_add_f64_e64 v[58:59], v[140:141], -v[164:165]
	v_fma_f64 v[12:13], v[12:13], v[48:49], v[144:145]
	v_add_f64_e64 v[66:67], v[164:165], -v[140:141]
	v_fma_f64 v[48:49], v[176:177], v[48:49], -v[50:51]
	v_fma_f64 v[14:15], v[14:15], v[60:61], v[98:99]
	v_fma_f64 v[50:51], v[178:179], v[60:61], -v[62:63]
	v_add_f64_e64 v[60:61], v[152:153], -v[160:161]
	v_add_f64_e32 v[62:63], v[138:139], v[140:141]
	v_add_f64_e32 v[86:87], v[140:141], v[152:153]
	;; [unrolled: 1-line block ×3, first 2 shown]
	v_add_f64_e64 v[90:91], v[162:163], -v[96:97]
	v_add_f64_e32 v[98:99], v[162:163], v[156:157]
	v_add_f64_e64 v[100:101], v[156:157], -v[150:151]
	v_add_f64_e32 v[106:107], v[96:97], v[150:151]
	v_add_f64_e32 v[112:113], v[136:137], v[108:109]
	;; [unrolled: 1-line block ×7, first 2 shown]
	v_add_f64_e64 v[82:83], v[96:97], -v[162:163]
	v_add_f64_e64 v[104:105], v[108:109], -v[10:11]
	;; [unrolled: 1-line block ×12, first 2 shown]
	v_add_f64_e32 v[202:203], v[148:149], v[146:147]
	v_add_f64_e64 v[204:205], v[28:29], -v[74:75]
	v_add_f64_e64 v[72:73], v[72:73], -v[76:77]
	v_add_f64_e64 v[108:109], v[108:109], -v[6:7]
	v_fma_f64 v[80:81], v[80:81], -0.5, v[138:139]
	v_add_f64_e32 v[158:159], v[182:183], v[158:159]
	v_add_f64_e64 v[174:175], v[74:75], -v[76:77]
	v_add_f64_e64 v[178:179], v[142:143], -v[154:155]
	v_add_f64_e32 v[66:67], v[66:67], v[70:71]
	v_add_f64_e64 v[70:71], v[38:39], -v[46:47]
	v_add_f64_e64 v[184:185], v[154:155], -v[142:143]
	;; [unrolled: 1-line block ×3, first 2 shown]
	v_add_f64_e32 v[58:59], v[58:59], v[60:61]
	v_add_f64_e32 v[60:61], v[20:21], v[16:17]
	;; [unrolled: 1-line block ×4, first 2 shown]
	v_fma_f64 v[86:87], v[86:87], -0.5, v[138:139]
	v_add_f64_e32 v[138:139], v[94:95], v[38:39]
	v_add_f64_e32 v[88:89], v[88:89], v[162:163]
	v_fma_f64 v[98:99], v[98:99], -0.5, v[102:103]
	v_add_f64_e32 v[162:163], v[52:53], v[68:69]
	v_fma_f64 v[102:103], v[106:107], -0.5, v[102:103]
	v_add_f64_e32 v[106:107], v[32:33], v[48:49]
	v_add_f64_e32 v[90:91], v[90:91], v[100:101]
	v_fma_f64 v[100:101], v[170:171], -0.5, v[92:93]
	v_add_f64_e32 v[10:11], v[112:113], v[10:11]
	v_fma_f64 v[118:119], v[118:119], -0.5, v[136:137]
	v_fma_f64 v[122:123], v[122:123], -0.5, v[136:137]
	v_add_f64_e32 v[28:29], v[144:145], v[28:29]
	v_fma_f64 v[92:93], v[188:189], -0.5, v[92:93]
	v_add_f64_e32 v[82:83], v[82:83], v[84:85]
	v_add_f64_e64 v[84:85], v[148:149], -v[146:147]
	v_add_f64_e64 v[170:171], v[32:33], -v[48:49]
	v_add_f64_e32 v[136:137], v[168:169], v[24:25]
	v_add_f64_e32 v[188:189], v[166:167], v[32:33]
	v_add_f64_e64 v[182:183], v[24:25], -v[12:13]
	v_add_f64_e64 v[38:39], v[148:149], -v[38:39]
	v_fma_f64 v[134:135], v[194:195], -0.5, v[134:135]
	v_add_f64_e32 v[104:105], v[104:105], v[110:111]
	v_fma_f64 v[110:111], v[202:203], -0.5, v[94:95]
	v_add_f64_e32 v[114:115], v[114:115], v[116:117]
	v_fma_f64 v[94:95], v[211:212], -0.5, v[94:95]
	v_add_f64_e32 v[116:117], v[120:121], v[132:133]
	v_fma_f64 v[120:121], v[96:97], s[14:15], v[80:81]
	v_fma_f64 v[80:81], v[96:97], s[12:13], v[80:81]
	v_add_f64_e64 v[124:125], v[124:125], -v[142:143]
	v_add_f64_e64 v[112:113], v[52:53], -v[68:69]
	;; [unrolled: 1-line block ×4, first 2 shown]
	v_add_f64_e32 v[172:173], v[172:173], v[174:175]
	v_add_f64_e32 v[174:175], v[176:177], v[178:179]
	v_fma_f64 v[60:61], v[60:61], -0.5, v[168:169]
	v_add_f64_e32 v[62:63], v[62:63], v[160:161]
	v_fma_f64 v[164:165], v[164:165], -0.5, v[168:169]
	v_fma_f64 v[132:133], v[190:191], s[12:13], v[86:87]
	v_fma_f64 v[86:87], v[190:191], s[14:15], v[86:87]
	v_add_f64_e32 v[88:89], v[88:89], v[156:157]
	v_fma_f64 v[156:157], v[140:141], s[12:13], v[98:99]
	v_fma_f64 v[98:99], v[140:141], s[14:15], v[98:99]
	;; [unrolled: 1-line block ×4, first 2 shown]
	v_fma_f64 v[162:163], v[162:163], -0.5, v[166:167]
	v_fma_f64 v[168:169], v[108:109], s[12:13], v[100:101]
	v_fma_f64 v[106:107], v[106:107], -0.5, v[166:167]
	v_add_f64_e32 v[2:3], v[10:11], v[2:3]
	v_fma_f64 v[10:11], v[72:73], s[14:15], v[118:119]
	v_fma_f64 v[118:119], v[72:73], s[12:13], v[118:119]
	;; [unrolled: 1-line block ×4, first 2 shown]
	v_add_f64_e32 v[28:29], v[28:29], v[74:75]
	v_fma_f64 v[74:75], v[108:109], s[14:15], v[100:101]
	v_fma_f64 v[100:101], v[200:201], s[14:15], v[92:93]
	;; [unrolled: 1-line block ×3, first 2 shown]
	v_add_f64_e32 v[138:139], v[138:139], v[148:149]
	v_add_f64_e32 v[148:149], v[158:159], v[154:155]
	v_fma_f64 v[154:155], v[70:71], s[14:15], v[192:193]
	v_fma_f64 v[158:159], v[70:71], s[12:13], v[192:193]
	v_add_f64_e32 v[176:177], v[180:181], v[184:185]
	v_add_f64_e32 v[178:179], v[186:187], v[196:197]
	v_fma_f64 v[180:181], v[84:85], s[12:13], v[134:135]
	v_fma_f64 v[134:135], v[84:85], s[14:15], v[134:135]
	;; [unrolled: 1-line block ×8, first 2 shown]
	v_add_f64_e32 v[38:39], v[38:39], v[194:195]
	v_add_f64_e32 v[62:63], v[62:63], v[152:153]
	v_add_f64_e64 v[152:153], v[12:13], -v[16:17]
	v_fma_f64 v[132:133], v[96:97], s[2:3], v[132:133]
	v_fma_f64 v[86:87], v[96:97], s[6:7], v[86:87]
	v_add_f64_e32 v[88:89], v[88:89], v[150:151]
	v_fma_f64 v[96:97], v[198:199], s[6:7], v[156:157]
	v_fma_f64 v[98:99], v[198:199], s[2:3], v[98:99]
	;; [unrolled: 1-line block ×4, first 2 shown]
	v_add_f64_e64 v[140:141], v[24:25], -v[20:21]
	v_add_f64_e64 v[24:25], v[20:21], -v[24:25]
	v_fma_f64 v[160:161], v[170:171], s[14:15], v[60:61]
	v_fma_f64 v[60:61], v[170:171], s[12:13], v[60:61]
	;; [unrolled: 1-line block ×3, first 2 shown]
	v_add_f64_e32 v[2:3], v[2:3], v[6:7]
	v_fma_f64 v[6:7], v[204:205], s[2:3], v[10:11]
	v_fma_f64 v[10:11], v[204:205], s[6:7], v[118:119]
	;; [unrolled: 1-line block ×4, first 2 shown]
	v_add_f64_e32 v[28:29], v[28:29], v[76:77]
	v_fma_f64 v[76:77], v[108:109], s[6:7], v[100:101]
	v_fma_f64 v[92:93], v[108:109], s[2:3], v[92:93]
	v_add_f64_e32 v[20:21], v[136:137], v[20:21]
	v_add_f64_e64 v[100:101], v[32:33], -v[52:53]
	v_add_f64_e64 v[108:109], v[48:49], -v[68:69]
	v_fma_f64 v[122:123], v[182:183], s[12:13], v[162:163]
	v_fma_f64 v[136:137], v[84:85], s[2:3], v[154:155]
	;; [unrolled: 1-line block ×3, first 2 shown]
	v_add_f64_e32 v[158:159], v[54:55], v[64:65]
	v_fma_f64 v[154:155], v[182:183], s[14:15], v[162:163]
	v_add_f64_e32 v[162:163], v[188:189], v[52:53]
	v_add_f64_e32 v[188:189], v[40:41], v[50:51]
	v_add_f64_e64 v[156:157], v[16:17], -v[12:13]
	v_fma_f64 v[190:191], v[112:113], s[12:13], v[164:165]
	v_fma_f64 v[164:165], v[112:113], s[14:15], v[164:165]
	;; [unrolled: 1-line block ×3, first 2 shown]
	v_add_f64_e64 v[32:33], v[52:53], -v[32:33]
	v_add_f64_e64 v[52:53], v[68:69], -v[48:49]
	v_fma_f64 v[166:167], v[144:145], s[14:15], v[106:107]
	v_fma_f64 v[106:107], v[144:145], s[12:13], v[106:107]
	v_add_f64_e32 v[138:139], v[138:139], v[146:147]
	v_fma_f64 v[146:147], v[124:125], s[6:7], v[186:187]
	v_fma_f64 v[94:95], v[124:125], s[2:3], v[94:95]
	;; [unrolled: 1-line block ×6, first 2 shown]
	v_add_f64_e32 v[124:125], v[140:141], v[152:153]
	v_fma_f64 v[86:87], v[82:83], s[16:17], v[96:97]
	v_fma_f64 v[140:141], v[112:113], s[2:3], v[160:161]
	;; [unrolled: 1-line block ×9, first 2 shown]
	v_add_f64_e32 v[104:105], v[26:27], v[14:15]
	v_add_f64_e64 v[132:133], v[22:23], -v[18:19]
	v_fma_f64 v[180:181], v[70:71], s[2:3], v[180:181]
	v_add_f64_e32 v[16:17], v[20:21], v[16:17]
	v_fma_f64 v[70:71], v[70:71], s[6:7], v[134:135]
	v_add_f64_e32 v[20:21], v[100:101], v[108:109]
	;; [unrolled: 2-line block ×3, first 2 shown]
	v_add_f64_e64 v[108:109], v[26:27], -v[14:15]
	v_fma_f64 v[122:123], v[158:159], -0.5, v[30:31]
	v_fma_f64 v[102:103], v[144:145], s[2:3], v[154:155]
	v_add_f64_e32 v[68:69], v[162:163], v[68:69]
	v_fma_f64 v[144:145], v[188:189], -0.5, v[30:31]
	v_fma_f64 v[134:135], v[206:207], s[6:7], v[184:185]
	v_fma_f64 v[110:111], v[206:207], s[2:3], v[110:111]
	v_add_f64_e32 v[24:25], v[24:25], v[156:157]
	v_fma_f64 v[152:153], v[170:171], s[2:3], v[190:191]
	v_fma_f64 v[156:157], v[170:171], s[6:7], v[164:165]
	v_add_f64_e32 v[32:33], v[32:33], v[52:53]
	v_fma_f64 v[52:53], v[182:183], s[6:7], v[166:167]
	v_fma_f64 v[106:107], v[182:183], s[2:3], v[106:107]
	;; [unrolled: 1-line block ×5, first 2 shown]
	v_add_f64_e32 v[114:115], v[62:63], v[2:3]
	v_add_f64_e64 v[2:3], v[62:63], -v[2:3]
	v_add_f64_e32 v[62:63], v[88:89], v[28:29]
	v_add_f64_e64 v[88:89], v[88:89], -v[28:29]
	v_add_f64_e32 v[116:117], v[148:149], v[142:143]
	v_add_f64_e32 v[148:149], v[8:9], v[0:1]
	;; [unrolled: 1-line block ×4, first 2 shown]
	v_mul_f64_e32 v[28:29], s[2:3], v[112:113]
	v_mul_f64_e32 v[112:113], s[0:1], v[112:113]
	v_fma_f64 v[146:147], v[38:39], s[16:17], v[146:147]
	v_fma_f64 v[38:39], v[38:39], s[16:17], v[94:95]
	v_add_f64_e64 v[94:95], v[40:41], -v[50:51]
	v_add_f64_e64 v[154:155], v[40:41], -v[54:55]
	;; [unrolled: 1-line block ×3, first 2 shown]
	v_fma_f64 v[140:141], v[124:125], s[16:17], v[140:141]
	v_add_f64_e64 v[160:161], v[54:55], -v[40:41]
	v_add_f64_e32 v[12:13], v[16:17], v[12:13]
	v_add_f64_e64 v[164:165], v[64:65], -v[50:51]
	v_fma_f64 v[60:61], v[124:125], s[16:17], v[60:61]
	v_add_f64_e32 v[150:151], v[36:37], v[78:79]
	v_fma_f64 v[16:17], v[100:101], -0.5, v[42:43]
	v_fma_f64 v[100:101], v[104:105], -0.5, v[42:43]
	v_fma_f64 v[162:163], v[108:109], s[12:13], v[122:123]
	v_add_f64_e64 v[104:105], v[54:55], -v[64:65]
	v_fma_f64 v[122:123], v[108:109], s[14:15], v[122:123]
	v_fma_f64 v[166:167], v[132:133], s[14:15], v[144:145]
	;; [unrolled: 1-line block ×3, first 2 shown]
	v_add_f64_e32 v[48:49], v[68:69], v[48:49]
	v_fma_f64 v[68:69], v[20:21], s[16:17], v[98:99]
	v_add_f64_e32 v[98:99], v[44:45], v[56:57]
	v_fma_f64 v[76:77], v[172:173], s[16:17], v[76:77]
	v_fma_f64 v[92:93], v[172:173], s[16:17], v[92:93]
	;; [unrolled: 1-line block ×10, first 2 shown]
	v_add_f64_e32 v[156:157], v[126:127], v[44:45]
	v_add_f64_e64 v[170:171], v[26:27], -v[22:23]
	v_add_f64_e64 v[172:173], v[14:15], -v[18:19]
	;; [unrolled: 1-line block ×3, first 2 shown]
	v_fma_f64 v[138:139], v[138:139], -0.5, v[130:131]
	v_fma_f64 v[28:29], v[6:7], s[0:1], v[28:29]
	v_fma_f64 v[6:7], v[6:7], s[6:7], v[112:113]
	v_fma_f64 v[112:113], v[148:149], -0.5, v[130:131]
	v_add_f64_e64 v[148:149], v[44:45], -v[56:57]
	v_add_f64_e32 v[130:131], v[130:131], v[34:35]
	v_add_f64_e32 v[26:27], v[42:43], v[26:27]
	;; [unrolled: 1-line block ×3, first 2 shown]
	v_fma_f64 v[142:143], v[176:177], s[16:17], v[180:181]
	v_fma_f64 v[70:71], v[176:177], s[16:17], v[70:71]
	v_add_f64_e64 v[152:153], v[36:37], -v[78:79]
	v_add_f64_e64 v[180:181], v[18:19], -v[14:15]
	v_add_f64_e32 v[158:159], v[160:161], v[164:165]
	v_fma_f64 v[150:151], v[150:151], -0.5, v[126:127]
	v_fma_f64 v[174:175], v[94:95], s[14:15], v[16:17]
	v_fma_f64 v[16:17], v[94:95], s[12:13], v[16:17]
	;; [unrolled: 1-line block ×8, first 2 shown]
	v_add_f64_e64 v[168:169], v[34:35], -v[4:5]
	v_add_f64_e32 v[30:31], v[30:31], v[40:41]
	v_add_f64_e64 v[40:41], v[8:9], -v[0:1]
	v_fma_f64 v[98:99], v[98:99], -0.5, v[126:127]
	v_fma_f64 v[20:21], v[20:21], s[16:17], v[102:103]
	v_mul_f64_e32 v[102:103], s[14:15], v[76:77]
	v_mul_f64_e32 v[106:107], s[14:15], v[92:93]
	;; [unrolled: 1-line block ×4, first 2 shown]
	s_wait_alu 0xfffe
	v_mul_f64_e32 v[74:75], s[20:21], v[74:75]
	v_mul_f64_e32 v[126:127], s[2:3], v[68:69]
	;; [unrolled: 1-line block ×3, first 2 shown]
	v_add_f64_e64 v[162:163], v[34:35], -v[8:9]
	v_add_f64_e64 v[164:165], v[4:5], -v[0:1]
	v_mul_f64_e32 v[166:167], s[14:15], v[32:33]
	v_mul_f64_e32 v[32:33], s[18:19], v[32:33]
	v_add_f64_e64 v[34:35], v[8:9], -v[34:35]
	v_add_f64_e32 v[156:157], v[156:157], v[36:37]
	v_add_f64_e32 v[170:171], v[170:171], v[172:173]
	v_mul_f64_e32 v[68:69], s[0:1], v[68:69]
	v_fma_f64 v[182:183], v[148:149], s[14:15], v[112:113]
	v_add_f64_e32 v[8:9], v[130:131], v[8:9]
	v_add_f64_e64 v[130:131], v[44:45], -v[36:37]
	v_add_f64_e64 v[36:37], v[36:37], -v[44:45]
	;; [unrolled: 1-line block ×3, first 2 shown]
	v_add_f64_e32 v[22:23], v[26:27], v[22:23]
	v_mul_f64_e32 v[132:133], s[14:15], v[52:53]
	v_mul_f64_e32 v[52:53], s[16:17], v[52:53]
	v_fma_f64 v[184:185], v[152:153], s[12:13], v[138:139]
	v_fma_f64 v[138:139], v[152:153], s[14:15], v[138:139]
	;; [unrolled: 1-line block ×3, first 2 shown]
	v_add_f64_e64 v[186:187], v[0:1], -v[4:5]
	v_fma_f64 v[154:155], v[42:43], s[16:17], v[154:155]
	v_add_f64_e32 v[26:27], v[178:179], v[180:181]
	v_fma_f64 v[176:177], v[94:95], s[2:3], v[176:177]
	v_fma_f64 v[160:161], v[158:159], s[16:17], v[160:161]
	;; [unrolled: 1-line block ×8, first 2 shown]
	v_add_f64_e32 v[30:31], v[30:31], v[54:55]
	v_add_f64_e64 v[54:55], v[78:79], -v[56:57]
	v_fma_f64 v[104:105], v[168:169], s[14:15], v[150:151]
	v_fma_f64 v[108:109], v[40:41], s[14:15], v[98:99]
	;; [unrolled: 1-line block ×9, first 2 shown]
	v_mul_f64_e32 v[126:127], s[2:3], v[20:21]
	v_fma_f64 v[76:77], v[118:119], s[12:13], v[76:77]
	v_add_f64_e32 v[122:123], v[162:163], v[164:165]
	v_fma_f64 v[124:125], v[24:25], s[18:19], v[166:167]
	v_fma_f64 v[24:25], v[24:25], s[12:13], v[32:33]
	;; [unrolled: 1-line block ×3, first 2 shown]
	v_add_f64_e32 v[0:1], v[8:9], v[0:1]
	v_mul_f64_e32 v[20:21], s[20:21], v[20:21]
	v_fma_f64 v[68:69], v[140:141], s[6:7], v[68:69]
	v_add_f64_e32 v[8:9], v[130:131], v[44:45]
	v_add_f64_e32 v[18:19], v[22:23], v[18:19]
	v_fma_f64 v[118:119], v[144:145], s[16:17], v[132:133]
	v_fma_f64 v[52:53], v[144:145], s[12:13], v[52:53]
	;; [unrolled: 1-line block ×5, first 2 shown]
	v_add_f64_e32 v[34:35], v[34:35], v[186:187]
	v_mul_f64_e32 v[130:131], s[2:3], v[154:155]
	v_add_f64_e32 v[78:79], v[156:157], v[78:79]
	v_fma_f64 v[140:141], v[26:27], s[16:17], v[176:177]
	v_mul_f64_e32 v[144:145], s[14:15], v[160:161]
	v_fma_f64 v[26:27], v[26:27], s[16:17], v[94:95]
	v_mul_f64_e32 v[94:95], s[14:15], v[100:101]
	v_fma_f64 v[112:113], v[152:153], s[6:7], v[112:113]
	v_fma_f64 v[16:17], v[170:171], s[16:17], v[16:17]
	v_mul_f64_e32 v[148:149], s[2:3], v[42:43]
	v_fma_f64 v[44:45], v[40:41], s[6:7], v[172:173]
	v_mul_f64_e32 v[42:43], s[20:21], v[42:43]
	v_add_f64_e32 v[36:37], v[36:37], v[54:55]
	v_mul_f64_e32 v[54:55], s[0:1], v[154:155]
	v_fma_f64 v[40:41], v[40:41], s[2:3], v[104:105]
	v_add_f64_e32 v[30:31], v[30:31], v[64:65]
	v_fma_f64 v[64:65], v[168:169], s[6:7], v[108:109]
	v_fma_f64 v[98:99], v[168:169], s[2:3], v[98:99]
	v_mul_f64_e32 v[100:101], s[18:19], v[100:101]
	v_add_f64_e32 v[108:109], v[120:121], v[28:29]
	v_add_f64_e64 v[28:29], v[120:121], -v[28:29]
	v_add_f64_e32 v[120:121], v[80:81], v[102:103]
	v_add_f64_e64 v[80:81], v[80:81], -v[102:103]
	;; [unrolled: 2-line block ×4, first 2 shown]
	v_fma_f64 v[92:93], v[60:61], s[20:21], v[126:127]
	v_mul_f64_e32 v[104:105], s[16:17], v[160:161]
	v_add_f64_e32 v[126:127], v[86:87], v[6:7]
	v_add_f64_e64 v[86:87], v[86:87], -v[6:7]
	v_add_f64_e32 v[150:151], v[96:97], v[76:77]
	v_add_f64_e64 v[76:77], v[96:97], -v[76:77]
	;; [unrolled: 2-line block ×4, first 2 shown]
	v_fma_f64 v[6:7], v[60:61], s[6:7], v[20:21]
	v_add_f64_e32 v[0:1], v[0:1], v[4:5]
	v_fma_f64 v[4:5], v[122:123], s[16:17], v[32:33]
	v_add_f64_e32 v[10:11], v[18:19], v[14:15]
	v_fma_f64 v[18:19], v[22:23], s[0:1], v[130:131]
	v_fma_f64 v[20:21], v[34:35], s[16:17], v[132:133]
	;; [unrolled: 1-line block ×6, first 2 shown]
	v_add_f64_e32 v[56:57], v[78:79], v[56:57]
	v_fma_f64 v[78:79], v[16:17], s[20:21], v[148:149]
	v_fma_f64 v[44:45], v[8:9], s[16:17], v[44:45]
	;; [unrolled: 1-line block ×5, first 2 shown]
	v_add_f64_e32 v[42:43], v[116:117], v[12:13]
	v_add_f64_e32 v[54:55], v[136:137], v[74:75]
	v_fma_f64 v[40:41], v[36:37], s[16:17], v[64:65]
	v_fma_f64 v[36:37], v[36:37], s[16:17], v[98:99]
	v_add_f64_e64 v[64:65], v[136:137], -v[74:75]
	v_add_f64_e32 v[74:75], v[142:143], v[118:119]
	v_add_f64_e32 v[98:99], v[70:71], v[124:125]
	v_fma_f64 v[26:27], v[26:27], s[12:13], v[100:101]
	v_add_f64_e64 v[12:13], v[116:117], -v[12:13]
	v_add_f64_e64 v[94:95], v[142:143], -v[118:119]
	v_add_f64_e32 v[30:31], v[30:31], v[50:51]
	v_add_f64_e64 v[70:71], v[70:71], -v[124:125]
	v_add_f64_e32 v[100:101], v[84:85], v[92:93]
	v_fma_f64 v[50:51], v[140:141], s[12:13], v[104:105]
	v_add_f64_e64 v[84:85], v[84:85], -v[92:93]
	v_add_f64_e32 v[92:93], v[46:47], v[48:49]
	v_add_f64_e64 v[46:47], v[46:47], -v[48:49]
	v_add_f64_e32 v[48:49], v[134:135], v[68:69]
	;; [unrolled: 2-line block ×3, first 2 shown]
	v_add_f64_e64 v[130:131], v[38:39], -v[24:25]
	v_cmp_lt_u32_e64 s0, 0x4a, v209
	v_add_f64_e32 v[132:133], v[110:111], v[6:7]
	v_add_f64_e64 v[134:135], v[110:111], -v[6:7]
	v_add_f64_e32 v[104:105], v[146:147], v[52:53]
	v_add_f64_e32 v[6:7], v[0:1], v[10:11]
	v_add_f64_e64 v[0:1], v[0:1], -v[10:11]
	v_add_f64_e32 v[10:11], v[4:5], v[18:19]
	v_add_f64_e64 v[4:5], v[4:5], -v[18:19]
	v_add_f64_e32 v[18:19], v[20:21], v[32:33]
	v_add_f64_e32 v[24:25], v[34:35], v[60:61]
	v_add_f64_e64 v[20:21], v[20:21], -v[32:33]
	v_add_f64_e64 v[32:33], v[34:35], -v[60:61]
	v_add_f64_e32 v[34:35], v[14:15], v[78:79]
	v_add_f64_e64 v[14:15], v[14:15], -v[78:79]
	v_add_f64_e64 v[52:53], v[146:147], -v[52:53]
	v_add_f64_e32 v[78:79], v[44:45], v[22:23]
	v_add_f64_e64 v[44:45], v[44:45], -v[22:23]
	s_wait_alu 0xf1ff
	v_cndmask_b32_e64 v22, 0, 0x1770, s0
	v_lshlrev_b32_e32 v23, 3, v252
	v_add_f64_e32 v[142:143], v[8:9], v[16:17]
	v_add_f64_e64 v[144:145], v[8:9], -v[16:17]
	v_and_b32_e32 v8, 0xffff, v251
	v_and_b32_e32 v16, 0xffff, v253
	v_add3_u32 v146, 0, v22, v23
	ds_store_2addr_b64 v146, v[114:115], v[108:109] offset1:75
	ds_store_2addr_b64 v146, v[120:121], v[102:103] offset0:150 offset1:225
	v_add_nc_u32_e32 v102, 0x800, v146
	v_mul_u32_u24_e32 v8, 0x1770, v8
	v_lshlrev_b32_e32 v9, 3, v128
	v_add_nc_u32_e32 v103, 0xc00, v146
	v_add_nc_u32_e32 v128, 0x1000, v146
	ds_store_2addr_b64 v102, v[106:107], v[2:3] offset0:44 offset1:119
	v_mul_u32_u24_e32 v2, 0x1770, v16
	v_lshlrev_b32_e32 v3, 3, v254
	v_add3_u32 v106, 0, v8, v9
	ds_store_2addr_b64 v103, v[28:29], v[80:81] offset0:66 offset1:141
	ds_store_2addr_b64 v128, v[66:67], v[58:59] offset0:88 offset1:163
	v_add_f64_e32 v[60:61], v[56:57], v[30:31]
	v_add_f64_e64 v[56:57], v[56:57], -v[30:31]
	v_add3_u32 v59, 0, v2, v3
	ds_store_2addr_b64 v106, v[42:43], v[54:55] offset1:75
	v_add_nc_u32_e32 v54, 0x800, v106
	v_add_nc_u32_e32 v55, 0xc00, v106
	;; [unrolled: 1-line block ×3, first 2 shown]
	ds_store_2addr_b64 v106, v[74:75], v[98:99] offset0:150 offset1:225
	ds_store_2addr_b64 v54, v[100:101], v[12:13] offset0:44 offset1:119
	;; [unrolled: 1-line block ×4, first 2 shown]
	v_add_nc_u32_e32 v64, 0x800, v59
	v_add_nc_u32_e32 v65, 0xc00, v59
	;; [unrolled: 1-line block ×3, first 2 shown]
	v_add_f64_e32 v[136:137], v[40:41], v[50:51]
	v_add_f64_e64 v[50:51], v[40:41], -v[50:51]
	v_add_f64_e32 v[138:139], v[36:37], v[26:27]
	v_add_f64_e64 v[140:141], v[36:37], -v[26:27]
	ds_store_2addr_b64 v59, v[6:7], v[10:11] offset1:75
	ds_store_2addr_b64 v59, v[18:19], v[24:25] offset0:150 offset1:225
	ds_store_2addr_b64 v64, v[34:35], v[0:1] offset0:44 offset1:119
	;; [unrolled: 1-line block ×4, first 2 shown]
	global_wb scope:SCOPE_SE
	s_wait_dscnt 0x0
	s_barrier_signal -1
	s_barrier_wait -1
	global_inv scope:SCOPE_SE
	ds_load_b64 v[108:109], v226
	ds_load_2addr_b64 v[4:7], v227 offset0:95 offset1:220
	ds_load_2addr_b64 v[8:11], v231 offset0:77 offset1:202
	;; [unrolled: 1-line block ×11, first 2 shown]
	ds_load_b64 v[112:113], v247
	ds_load_b64 v[114:115], v248
	;; [unrolled: 1-line block ×6, first 2 shown]
	ds_load_b64 v[122:123], v226 offset:29000
	global_wb scope:SCOPE_SE
	s_wait_dscnt 0x0
	s_barrier_signal -1
	s_barrier_wait -1
	global_inv scope:SCOPE_SE
	ds_store_2addr_b64 v146, v[62:63], v[126:127] offset1:75
	ds_store_2addr_b64 v146, v[150:151], v[96:97] offset0:150 offset1:225
	ds_store_2addr_b64 v102, v[90:91], v[88:89] offset0:44 offset1:119
	ds_store_2addr_b64 v103, v[86:87], v[76:77] offset0:66 offset1:141
	ds_store_2addr_b64 v128, v[72:73], v[82:83] offset0:88 offset1:163
	ds_store_2addr_b64 v106, v[92:93], v[48:49] offset1:75
	ds_store_2addr_b64 v106, v[104:105], v[124:125] offset0:150 offset1:225
	ds_store_2addr_b64 v54, v[132:133], v[46:47] offset0:44 offset1:119
	ds_store_2addr_b64 v55, v[68:69], v[52:53] offset0:66 offset1:141
	ds_store_2addr_b64 v58, v[130:131], v[134:135] offset0:88 offset1:163
	;; [unrolled: 5-line block ×3, first 2 shown]
	global_wb scope:SCOPE_SE
	s_wait_dscnt 0x0
	s_barrier_signal -1
	s_barrier_wait -1
	global_inv scope:SCOPE_SE
	s_and_saveexec_b32 s0, vcc_lo
	s_cbranch_execz .LBB0_15
; %bb.14:
	v_lshlrev_b32_e32 v128, 2, v236
	v_add_nc_u32_e32 v241, 0x947, v209
	s_delay_alu instid0(VALU_DEP_2) | instskip(SKIP_2) | instid1(VALU_DEP_2)
	v_lshlrev_b64_e32 v[44:45], 4, v[128:129]
	v_lshlrev_b32_e32 v128, 2, v225
	v_add_nc_u32_e32 v225, 0x659, v209
	v_lshlrev_b64_e32 v[46:47], 4, v[128:129]
	v_lshlrev_b32_e32 v128, 2, v224
	v_add_nc_u32_e32 v224, 0x2ee, v209
	s_delay_alu instid0(VALU_DEP_2) | instskip(SKIP_4) | instid1(VALU_DEP_3)
	v_lshlrev_b64_e32 v[48:49], 4, v[128:129]
	v_lshlrev_b32_e32 v128, 2, v217
	v_add_co_u32 v46, vcc_lo, s4, v46
	s_wait_alu 0xfffd
	v_add_co_ci_u32_e32 v47, vcc_lo, s5, v47, vcc_lo
	v_lshlrev_b64_e32 v[70:71], 4, v[128:129]
	v_lshlrev_b32_e32 v128, 2, v216
	v_add_co_u32 v48, vcc_lo, s4, v48
	s_wait_alu 0xfffd
	v_add_co_ci_u32_e32 v49, vcc_lo, s5, v49, vcc_lo
	s_delay_alu instid0(VALU_DEP_3)
	v_lshlrev_b64_e32 v[124:125], 4, v[128:129]
	v_lshlrev_b32_e32 v128, 2, v209
	v_add_co_u32 v68, vcc_lo, s4, v44
	s_wait_alu 0xfffd
	v_add_co_ci_u32_e32 v69, vcc_lo, s5, v45, vcc_lo
	v_add_co_u32 v96, vcc_lo, s4, v70
	v_lshlrev_b64_e32 v[140:141], 4, v[128:129]
	s_wait_alu 0xfffd
	v_add_co_ci_u32_e32 v97, vcc_lo, s5, v71, vcc_lo
	v_add_co_u32 v136, vcc_lo, s4, v124
	s_wait_alu 0xfffd
	v_add_co_ci_u32_e32 v137, vcc_lo, s5, v125, vcc_lo
	v_add_co_u32 v144, vcc_lo, s4, v140
	s_wait_alu 0xfffd
	v_add_co_ci_u32_e32 v145, vcc_lo, s5, v141, vcc_lo
	s_clause 0x17
	global_load_b128 v[104:107], v[46:47], off offset:11968
	global_load_b128 v[92:95], v[48:49], off offset:11968
	;; [unrolled: 1-line block ×24, first 2 shown]
	ds_load_2addr_b64 v[158:161], v243 offset0:83 offset1:208
	ds_load_2addr_b64 v[162:165], v244 offset0:65 offset1:190
	scratch_load_b32 v166, off, off offset:60 th:TH_LOAD_LU ; 4-byte Folded Reload
	s_wait_loadcnt 0x17
	v_mul_f64_e32 v[194:195], v[40:41], v[94:95]
	s_wait_dscnt 0x1
	v_mul_f64_e32 v[94:95], v[158:159], v[94:95]
	s_wait_loadcnt 0x16
	v_mul_f64_e32 v[196:197], v[38:39], v[90:91]
	s_wait_dscnt 0x0
	v_mul_f64_e32 v[90:91], v[164:165], v[90:91]
	s_wait_loadcnt 0x15
	v_mul_f64_e32 v[198:199], v[36:37], v[66:67]
	v_mul_f64_e32 v[144:145], v[42:43], v[106:107]
	;; [unrolled: 1-line block ×4, first 2 shown]
	s_wait_loadcnt 0x0
	v_sub_nc_u32_e32 v217, 0, v166
	scratch_load_b32 v166, off, off offset:64 th:TH_LOAD_LU ; 4-byte Folded Reload
	v_fma_f64 v[158:159], v[92:93], v[158:159], -v[194:195]
	v_fma_f64 v[40:41], v[40:41], v[92:93], v[94:95]
	v_mul_f64_e32 v[92:93], v[32:33], v[58:59]
	v_fma_f64 v[164:165], v[88:89], v[164:165], -v[196:197]
	v_fma_f64 v[88:89], v[38:39], v[88:89], v[90:91]
	v_fma_f64 v[144:145], v[104:105], v[160:161], -v[144:145]
	v_mul_f64_e32 v[160:161], v[34:35], v[62:63]
	v_fma_f64 v[104:105], v[42:43], v[104:105], v[106:107]
	v_mad_co_u64_u32 v[106:107], null, s8, v209, 0
	v_mad_co_u64_u32 v[94:95], null, s8, v224, 0
	v_fma_f64 v[162:163], v[64:65], v[162:163], -v[198:199]
	v_fma_f64 v[36:37], v[36:37], v[64:65], v[66:67]
	v_mad_co_u64_u32 v[38:39], null, s8, v225, 0
	s_delay_alu instid0(VALU_DEP_4)
	v_dual_mov_b32 v64, v107 :: v_dual_mov_b32 v65, v95
	s_wait_loadcnt 0x0
	v_sub_nc_u32_e32 v218, 0, v166
	scratch_load_b32 v166, off, off offset:68 th:TH_LOAD_LU ; 4-byte Folded Reload
	s_wait_loadcnt 0x0
	v_sub_nc_u32_e32 v216, 0, v166
	scratch_load_b32 v166, off, off offset:72 th:TH_LOAD_LU ; 4-byte Folded Reload
	;; [unrolled: 3-line block ×4, first 2 shown]
	s_wait_loadcnt 0x0
	v_sub_nc_u32_e32 v221, 0, v166
	ds_load_2addr_b64 v[166:169], v231 offset0:77 offset1:202
	ds_load_2addr_b64 v[170:173], v227 offset0:95 offset1:220
	;; [unrolled: 1-line block ×9, first 2 shown]
	ds_load_b64 v[200:201], v226 offset:29000
	ds_load_b64 v[206:207], v226
	v_add_nc_u32_e32 v230, 0xbb8, v209
	v_add_nc_u32_e32 v227, 0x5dc, v209
	scratch_load_b64 v[42:43], off, off th:TH_LOAD_LU ; 8-byte Folded Reload
	v_add_nc_u32_e32 v226, 0xc35, v209
	v_add_nc_u32_e32 v231, v208, v217
	v_mad_co_u64_u32 v[90:91], null, s8, v230, 0
	v_add_nc_u32_e32 v223, 0x7d, v209
	v_mad_co_u64_u32 v[194:195], null, s8, v227, 0
	v_add_nc_u32_e32 v229, 0x8ca, v209
	s_wait_dscnt 0x8
	v_mul_f64_e32 v[62:63], v[176:177], v[62:63]
	v_mul_f64_e32 v[58:59], v[174:175], v[58:59]
	v_fma_f64 v[160:161], v[60:61], v[176:177], -v[160:161]
	v_mov_b32_e32 v66, v195
	s_delay_alu instid0(VALU_DEP_4)
	v_fma_f64 v[34:35], v[34:35], v[60:61], v[62:63]
	v_fma_f64 v[62:63], v[56:57], v[174:175], -v[92:93]
	v_mov_b32_e32 v60, v91
	v_mad_co_u64_u32 v[196:197], null, s8, v223, 0
	v_fma_f64 v[32:33], v[32:33], v[56:57], v[58:59]
	v_mad_co_u64_u32 v[174:175], null, s9, v209, v[64:65]
	v_mad_co_u64_u32 v[64:65], null, s9, v224, v[65:66]
	v_mul_f64_e32 v[175:176], v[30:31], v[54:55]
	v_mov_b32_e32 v61, v197
	s_wait_dscnt 0x6
	v_mul_f64_e32 v[54:55], v[184:185], v[54:55]
	v_mov_b32_e32 v107, v174
	s_delay_alu instid0(VALU_DEP_3) | instskip(SKIP_1) | instid1(VALU_DEP_1)
	v_mad_co_u64_u32 v[59:60], null, s9, v230, v[60:61]
	v_mov_b32_e32 v95, v64
	v_lshlrev_b64_e32 v[94:95], 4, v[94:95]
	s_delay_alu instid0(VALU_DEP_3) | instskip(NEXT) | instid1(VALU_DEP_1)
	v_mov_b32_e32 v91, v59
	v_lshlrev_b64_e32 v[90:91], 4, v[90:91]
	v_mad_co_u64_u32 v[60:61], null, s9, v223, v[61:62]
	v_add_nc_u32_e32 v232, 0x36b, v209
	v_mul_f64_e32 v[208:209], v[28:29], v[50:51]
	v_mul_f64_e32 v[50:51], v[182:183], v[50:51]
	v_mad_co_u64_u32 v[223:224], null, s9, v225, v[39:40]
	v_dual_mov_b32 v197, v60 :: v_dual_add_nc_u32 v210, v210, v220
	v_mad_co_u64_u32 v[198:199], null, s8, v232, 0
	v_mul_f64_e32 v[59:60], v[8:9], v[78:79]
	v_fma_f64 v[174:175], v[52:53], v[184:185], -v[175:176]
	v_fma_f64 v[30:31], v[30:31], v[52:53], v[54:55]
	v_mul_f64_e32 v[52:53], v[22:23], v[86:87]
	s_wait_dscnt 0x5
	v_mul_f64_e32 v[54:55], v[188:189], v[86:87]
	v_mul_f64_e32 v[224:225], v[122:123], v[46:47]
	v_mov_b32_e32 v67, v199
	s_wait_dscnt 0x1
	v_mul_f64_e32 v[46:47], v[200:201], v[46:47]
	v_mul_f64_e32 v[176:177], v[26:27], v[82:83]
	;; [unrolled: 1-line block ×3, first 2 shown]
	v_mad_co_u64_u32 v[65:66], null, s9, v227, v[66:67]
	v_mad_co_u64_u32 v[66:67], null, s9, v232, v[67:68]
	v_add_nc_u32_e32 v222, v233, v219
	scratch_load_b32 v219, off, off offset:56 th:TH_LOAD_LU ; 4-byte Folded Reload
	v_mov_b32_e32 v195, v65
	v_mul_f64_e32 v[64:65], v[166:167], v[78:79]
	v_mov_b32_e32 v199, v66
	v_lshlrev_b64_e32 v[78:79], 4, v[106:107]
	v_mul_f64_e32 v[66:67], v[0:1], v[74:75]
	v_mul_f64_e32 v[74:75], v[178:179], v[74:75]
	;; [unrolled: 1-line block ×4, first 2 shown]
	v_lshlrev_b64_e32 v[184:185], 4, v[194:195]
	v_lshlrev_b64_e32 v[194:195], 4, v[196:197]
	;; [unrolled: 1-line block ×3, first 2 shown]
	v_fma_f64 v[86:87], v[48:49], v[182:183], -v[208:209]
	v_fma_f64 v[28:29], v[28:29], v[48:49], v[50:51]
	v_mul_f64_e32 v[48:49], v[14:15], v[102:103]
	v_mul_f64_e32 v[50:51], v[192:193], v[102:103]
	v_fma_f64 v[59:60], v[76:77], v[166:167], -v[59:60]
	v_add_f64_e32 v[166:167], v[144:145], v[164:165]
	v_fma_f64 v[52:53], v[84:85], v[188:189], -v[52:53]
	v_fma_f64 v[22:23], v[22:23], v[84:85], v[54:55]
	v_fma_f64 v[102:103], v[44:45], v[200:201], -v[224:225]
	v_mul_f64_e32 v[200:201], v[24:25], v[134:135]
	v_fma_f64 v[44:45], v[122:123], v[44:45], v[46:47]
	v_mul_f64_e32 v[46:47], v[20:21], v[126:127]
	v_mul_f64_e32 v[122:123], v[12:13], v[130:131]
	;; [unrolled: 1-line block ×3, first 2 shown]
	v_fma_f64 v[26:27], v[26:27], v[80:81], v[82:83]
	v_mul_f64_e32 v[82:83], v[172:173], v[142:143]
	v_mul_f64_e32 v[54:55], v[120:121], v[148:149]
	v_add_f64_e64 v[188:189], v[158:159], -v[62:63]
	v_fma_f64 v[8:9], v[8:9], v[76:77], v[64:65]
	v_mul_f64_e32 v[64:65], v[16:17], v[138:139]
	v_mul_f64_e32 v[76:77], v[186:187], v[126:127]
	v_fma_f64 v[66:67], v[72:73], v[178:179], -v[66:67]
	v_fma_f64 v[0:1], v[0:1], v[72:73], v[74:75]
	v_mul_f64_e32 v[72:73], v[202:203], v[134:135]
	v_mul_f64_e32 v[74:75], v[190:191], v[130:131]
	v_fma_f64 v[106:107], v[68:69], v[170:171], -v[106:107]
	;; [unrolled: 4-line block ×3, first 2 shown]
	v_mul_f64_e32 v[80:81], v[2:3], v[156:157]
	v_fma_f64 v[48:49], v[100:101], v[192:193], -v[48:49]
	v_fma_f64 v[14:15], v[14:15], v[100:101], v[50:51]
	v_mul_f64_e32 v[50:51], v[168:169], v[152:153]
	v_add_f64_e64 v[170:171], v[104:105], -v[34:35]
	v_add_f64_e32 v[176:177], v[34:35], v[30:31]
	v_add_f64_e64 v[178:179], v[34:35], -v[104:105]
	v_add_f64_e64 v[204:205], v[32:33], -v[40:41]
	;; [unrolled: 1-line block ×3, first 2 shown]
	v_add_f64_e32 v[192:193], v[62:63], v[86:87]
	v_fma_f64 v[46:47], v[124:125], v[186:187], -v[46:47]
	v_add_f64_e32 v[186:187], v[116:117], v[34:35]
	v_add_f64_e64 v[34:35], v[34:35], -v[30:31]
	v_fma_f64 v[6:7], v[6:7], v[140:141], v[82:83]
	v_fma_f64 v[64:65], v[136:137], v[211:212], -v[64:65]
	v_fma_f64 v[20:21], v[20:21], v[124:125], v[76:77]
	v_add_f64_e64 v[76:77], v[66:67], -v[102:103]
	v_fma_f64 v[24:25], v[24:25], v[132:133], v[72:73]
	v_fma_f64 v[12:13], v[12:13], v[128:129], v[74:75]
	v_add_f64_e64 v[82:83], v[106:107], -v[59:60]
	v_add_f64_e64 v[124:125], v[4:5], -v[8:9]
	v_fma_f64 v[16:17], v[16:17], v[136:137], v[68:69]
	v_fma_f64 v[68:69], v[140:141], v[172:173], -v[70:71]
	v_fma_f64 v[70:71], v[150:151], v[168:169], -v[84:85]
	;; [unrolled: 1-line block ×3, first 2 shown]
	v_add_f64_e32 v[80:81], v[106:107], v[102:103]
	v_add_f64_e64 v[84:85], v[102:103], -v[66:67]
	v_fma_f64 v[10:11], v[10:11], v[150:151], v[50:51]
	v_add_f64_e32 v[136:137], v[118:119], v[4:5]
	v_add_f64_e64 v[140:141], v[144:145], -v[160:161]
	v_add_f64_e32 v[150:151], v[160:161], v[174:175]
	v_add_f64_e64 v[172:173], v[88:89], -v[30:31]
	v_add_f64_e64 v[233:234], v[14:15], -v[22:23]
	v_fma_f64 v[176:177], v[176:177], -0.5, v[116:117]
	v_add_f64_e32 v[204:205], v[204:205], v[208:209]
	v_add_f64_e32 v[186:187], v[104:105], v[186:187]
	v_add_f64_e64 v[208:209], v[16:17], -v[24:25]
	v_add_f64_e32 v[82:83], v[82:83], v[84:85]
	v_add_f64_e32 v[170:171], v[170:171], v[172:173]
	s_wait_loadcnt 0x1
	v_add_co_u32 v42, vcc_lo, s10, v42
	s_wait_alu 0xfffd
	v_add_co_ci_u32_e32 v43, vcc_lo, s11, v43, vcc_lo
	s_delay_alu instid0(VALU_DEP_2) | instskip(SKIP_1) | instid1(VALU_DEP_2)
	v_add_co_u32 v182, vcc_lo, v42, v78
	s_wait_alu 0xfffd
	v_add_co_ci_u32_e32 v183, vcc_lo, v43, v79, vcc_lo
	v_mul_f64_e32 v[78:79], v[18:19], v[98:99]
	v_mul_f64_e32 v[98:99], v[213:214], v[98:99]
	v_add_co_u32 v130, vcc_lo, v42, v94
	s_wait_alu 0xfffd
	v_add_co_ci_u32_e32 v131, vcc_lo, v43, v95, vcc_lo
	v_add_co_u32 v134, vcc_lo, v42, v184
	s_wait_alu 0xfffd
	v_add_co_ci_u32_e32 v135, vcc_lo, v43, v185, vcc_lo
	;; [unrolled: 3-line block ×3, first 2 shown]
	v_fma_f64 v[90:91], v[128:129], v[190:191], -v[122:123]
	v_fma_f64 v[94:95], v[132:133], v[202:203], -v[200:201]
	v_add_f64_e64 v[128:129], v[44:45], -v[0:1]
	v_add_co_u32 v142, vcc_lo, v42, v194
	s_wait_alu 0xfffd
	v_add_co_ci_u32_e32 v143, vcc_lo, v43, v195, vcc_lo
	v_add_f64_e32 v[122:123], v[4:5], v[44:45]
	v_add_f64_e32 v[132:133], v[8:9], v[0:1]
	;; [unrolled: 1-line block ×3, first 2 shown]
	v_add_f64_e64 v[190:191], v[162:163], -v[86:87]
	v_add_f64_e64 v[194:195], v[62:63], -v[158:159]
	;; [unrolled: 1-line block ×5, first 2 shown]
	v_fma_f64 v[78:79], v[96:97], v[213:214], -v[78:79]
	v_fma_f64 v[18:19], v[18:19], v[96:97], v[98:99]
	v_mul_f64_e32 v[96:97], v[180:181], v[156:157]
	v_add_f64_e64 v[156:157], v[174:175], -v[164:165]
	v_add_f64_e64 v[180:181], v[30:31], -v[88:89]
	v_add_f64_e32 v[88:89], v[186:187], v[88:89]
	v_add_f64_e64 v[237:238], v[46:47], -v[90:91]
	v_add_f64_e64 v[84:85], v[90:91], -v[46:47]
	v_add_f64_e32 v[124:125], v[124:125], v[128:129]
	v_add_f64_e64 v[128:129], v[24:25], -v[16:17]
	v_fma_f64 v[122:123], v[122:123], -0.5, v[118:119]
	v_fma_f64 v[118:119], v[132:133], -0.5, v[118:119]
	v_add_f64_e32 v[132:133], v[32:33], v[28:29]
	v_fma_f64 v[116:117], v[184:185], -0.5, v[116:117]
	v_add_f64_e32 v[184:185], v[90:91], v[64:65]
	v_add_f64_e32 v[188:189], v[188:189], v[190:191]
	;; [unrolled: 1-line block ×4, first 2 shown]
	v_add_f64_e64 v[202:203], v[12:13], -v[20:21]
	v_add_f64_e64 v[212:213], v[126:127], -v[78:79]
	;; [unrolled: 1-line block ×3, first 2 shown]
	v_fma_f64 v[74:75], v[2:3], v[154:155], v[96:97]
	v_add_f64_e64 v[2:3], v[59:60], -v[106:107]
	v_add_f64_e32 v[96:97], v[59:60], v[66:67]
	v_add_f64_e64 v[154:155], v[160:161], -v[144:145]
	v_add_f64_e32 v[172:173], v[14:15], v[18:19]
	v_add_f64_e32 v[178:179], v[178:179], v[180:181]
	;; [unrolled: 1-line block ×3, first 2 shown]
	v_fma_f64 v[132:133], v[132:133], -0.5, v[114:115]
	s_wait_loadcnt 0x0
	v_add_nc_u32_e32 v243, v219, v218
	v_mad_co_u64_u32 v[217:218], null, s8, v229, 0
	v_mad_co_u64_u32 v[219:220], null, s8, v241, 0
	v_add_f64_e32 v[202:203], v[202:203], v[208:209]
	v_add_f64_e32 v[208:209], v[110:111], v[12:13]
	s_delay_alu instid0(VALU_DEP_4) | instskip(SKIP_2) | instid1(VALU_DEP_3)
	v_mov_b32_e32 v39, v218
	v_add_f64_e32 v[233:234], v[233:234], v[235:236]
	v_add_f64_e32 v[76:77], v[2:3], v[76:77]
	v_mad_co_u64_u32 v[229:230], null, s9, v229, v[39:40]
	v_add_nc_u32_e32 v221, v228, v221
	v_mov_b32_e32 v39, v223
	v_add_nc_u32_e32 v228, v215, v216
	v_mad_co_u64_u32 v[215:216], null, s8, v226, 0
	v_add_f64_e64 v[223:224], v[78:79], -v[126:127]
	v_mov_b32_e32 v218, v229
	ds_load_b64 v[57:58], v221
	ds_load_b64 v[92:93], v210
	;; [unrolled: 1-line block ×4, first 2 shown]
	v_add_f64_e64 v[210:211], v[52:53], -v[48:49]
	v_mov_b32_e32 v56, v216
	v_lshlrev_b64_e32 v[198:199], 4, v[217:218]
	v_add_f64_e64 v[216:217], v[48:49], -v[52:53]
	v_add_f64_e64 v[2:3], v[94:95], -v[64:65]
	v_add_f64_e32 v[154:155], v[154:155], v[156:157]
	v_add_f64_e32 v[156:157], v[48:49], v[78:79]
	v_fma_f64 v[172:173], v[172:173], -0.5, v[112:113]
	v_fma_f64 v[180:181], v[180:181], -0.5, v[112:113]
	v_add_f64_e32 v[112:113], v[112:113], v[14:15]
	scratch_load_b32 v214, off, off offset:48 th:TH_LOAD_LU ; 4-byte Folded Reload
	s_wait_dscnt 0x3
	v_mad_co_u64_u32 v[226:227], null, s9, v226, v[56:57]
	ds_load_b64 v[227:228], v228
	s_wait_dscnt 0x1
	v_mul_f64_e32 v[100:101], v[230:231], v[148:149]
	v_add_co_u32 v148, vcc_lo, v42, v196
	s_wait_alu 0xfffd
	v_add_co_ci_u32_e32 v149, vcc_lo, v43, v197, vcc_lo
	v_fma_f64 v[54:55], v[146:147], v[230:231], -v[54:55]
	v_add_f64_e32 v[98:99], v[106:107], v[57:58]
	v_add_f64_e32 v[168:169], v[160:161], v[92:93]
	v_add_f64_e64 v[196:197], v[86:87], -v[162:163]
	v_add_f64_e64 v[229:230], v[22:23], -v[14:15]
	;; [unrolled: 1-line block ×3, first 2 shown]
	v_fma_f64 v[80:81], v[80:81], -0.5, v[57:58]
	v_fma_f64 v[57:58], v[96:97], -0.5, v[57:58]
	v_add_f64_e64 v[96:97], v[64:65], -v[94:95]
	v_add_co_u32 v152, vcc_lo, v42, v198
	s_wait_alu 0xfffd
	v_add_co_ci_u32_e32 v153, vcc_lo, v43, v199, vcc_lo
	v_add_f64_e32 v[198:199], v[158:159], v[162:163]
	v_fma_f64 v[150:151], v[150:151], -0.5, v[92:93]
	v_fma_f64 v[92:93], v[166:167], -0.5, v[92:93]
	v_add_f64_e32 v[166:167], v[52:53], v[126:127]
	v_add_f64_e32 v[210:211], v[210:211], v[212:213]
	;; [unrolled: 1-line block ×5, first 2 shown]
	v_add_f64_e64 v[2:3], v[72:73], -v[70:71]
	v_mov_b32_e32 v56, v220
	v_fma_f64 v[192:193], v[192:193], -0.5, v[221:222]
	s_wait_dscnt 0x0
	v_fma_f64 v[156:157], v[156:157], -0.5, v[227:228]
	v_add_f64_e64 v[106:107], v[106:107], -v[102:103]
	v_add_f64_e64 v[160:161], v[160:161], -v[174:175]
	v_add_f64_e32 v[112:113], v[22:23], v[112:113]
	v_add_f64_e64 v[22:23], v[22:23], -v[26:27]
	v_add_f64_e64 v[14:15], v[14:15], -v[18:19]
	v_add_f64_e32 v[208:209], v[20:21], v[208:209]
	v_fma_f64 v[50:51], v[120:121], v[146:147], v[100:101]
	v_add_f64_e64 v[100:101], v[8:9], -v[4:5]
	v_add_f64_e64 v[120:121], v[0:1], -v[44:45]
	;; [unrolled: 1-line block ×5, first 2 shown]
	v_add_f64_e32 v[98:99], v[59:60], v[98:99]
	v_add_f64_e32 v[194:195], v[194:195], v[196:197]
	v_add_f64_e32 v[196:197], v[12:13], v[16:17]
	v_add_f64_e32 v[229:230], v[229:230], v[231:232]
	v_add_f64_e64 v[231:232], v[70:71], -v[72:73]
	v_add_f64_e32 v[168:169], v[144:145], v[168:169]
	v_add_f64_e32 v[239:240], v[84:85], v[96:97]
	;; [unrolled: 1-line block ×4, first 2 shown]
	v_add_f64_e64 v[59:60], v[59:60], -v[66:67]
	v_add_f64_e64 v[144:145], v[144:145], -v[164:165]
	v_fma_f64 v[198:199], v[198:199], -0.5, v[221:222]
	v_add_f64_e32 v[220:221], v[62:63], v[221:222]
	v_mad_co_u64_u32 v[241:242], null, s9, v241, v[56:57]
	v_fma_f64 v[166:167], v[166:167], -0.5, v[227:228]
	v_add_f64_e32 v[227:228], v[48:49], v[227:228]
	v_add_f64_e64 v[61:62], v[62:63], -v[86:87]
	v_add_f64_e64 v[48:49], v[48:49], -v[78:79]
	v_add_f64_e32 v[26:27], v[112:113], v[26:27]
	v_add_f64_e32 v[186:187], v[108:109], v[50:51]
	;; [unrolled: 1-line block ×3, first 2 shown]
	v_add_f64_e64 v[120:121], v[20:21], -v[12:13]
	v_add_f64_e32 v[140:141], v[140:141], v[146:147]
	v_add_f64_e32 v[146:147], v[40:41], v[36:37]
	v_add_f64_e64 v[20:21], v[20:21], -v[24:25]
	v_add_f64_e32 v[66:67], v[66:67], v[98:99]
	v_add_f64_e64 v[98:99], v[50:51], -v[6:7]
	v_fma_f64 v[196:197], v[196:197], -0.5, v[110:111]
	v_fma_f64 v[110:111], v[212:213], -0.5, v[110:111]
	v_add_f64_e32 v[212:213], v[54:55], v[206:207]
	v_add_f64_e32 v[222:223], v[223:224], v[231:232]
	v_add_f64_e64 v[224:225], v[6:7], -v[50:51]
	v_add_f64_e32 v[231:232], v[235:236], v[2:3]
	v_add_f64_e64 v[2:3], v[10:11], -v[74:75]
	v_fma_f64 v[84:85], v[84:85], -0.5, v[206:207]
	v_fma_f64 v[96:97], v[96:97], -0.5, v[206:207]
	v_add_f64_e32 v[206:207], v[50:51], v[74:75]
	v_add_f64_e32 v[164:165], v[164:165], v[168:169]
	;; [unrolled: 1-line block ×3, first 2 shown]
	v_add_f64_e64 v[235:236], v[4:5], -v[44:45]
	v_add_f64_e32 v[220:221], v[158:159], v[220:221]
	v_add_f64_e64 v[158:159], v[158:159], -v[162:163]
	v_add_f64_e32 v[227:228], v[52:53], v[227:228]
	v_add_f64_e64 v[50:51], v[50:51], -v[74:75]
	v_add_f64_e64 v[54:55], v[54:55], -v[72:73]
	v_fma_f64 v[244:245], v[59:60], s[14:15], v[122:123]
	v_fma_f64 v[122:123], v[59:60], s[12:13], v[122:123]
	v_add_f64_e64 v[52:53], v[52:53], -v[126:127]
	v_add_f64_e32 v[4:5], v[88:89], v[30:31]
	v_fma_f64 v[30:31], v[34:35], s[14:15], v[92:93]
	v_fma_f64 v[88:89], v[34:35], s[12:13], v[92:93]
	;; [unrolled: 1-line block ×3, first 2 shown]
	v_add_f64_e32 v[24:25], v[208:209], v[24:25]
	v_fma_f64 v[208:209], v[14:15], s[14:15], v[166:167]
	v_fma_f64 v[166:167], v[14:15], s[12:13], v[166:167]
	v_add_f64_e32 v[128:129], v[120:121], v[128:129]
	v_add_f64_e32 v[120:121], v[8:9], v[136:137]
	ds_load_b64 v[136:137], v243
	v_add_f64_e64 v[8:9], v[8:9], -v[0:1]
	v_fma_f64 v[146:147], v[146:147], -0.5, v[114:115]
	v_add_f64_e32 v[114:115], v[114:115], v[32:33]
	v_add_f64_e64 v[242:243], v[12:13], -v[16:17]
	v_add_f64_e64 v[32:33], v[32:33], -v[28:29]
	v_add_f64_e32 v[212:213], v[68:69], v[212:213]
	v_add_f64_e64 v[68:69], v[68:69], -v[70:71]
	v_fma_f64 v[206:207], v[206:207], -0.5, v[108:109]
	v_fma_f64 v[108:109], v[168:169], -0.5, v[108:109]
	v_add_f64_e32 v[162:163], v[162:163], v[220:221]
	v_fma_f64 v[112:113], v[158:159], s[14:15], v[132:133]
	v_add_f64_e32 v[126:127], v[126:127], v[227:228]
	s_wait_dscnt 0x0
	v_fma_f64 v[184:185], v[184:185], -0.5, v[136:137]
	v_fma_f64 v[190:191], v[190:191], -0.5, v[136:137]
	v_add_f64_e32 v[136:137], v[90:91], v[136:137]
	v_fma_f64 v[132:133], v[158:159], s[12:13], v[132:133]
	v_fma_f64 v[227:228], v[50:51], s[14:15], v[96:97]
	;; [unrolled: 1-line block ×3, first 2 shown]
	v_add_f64_e64 v[90:91], v[90:91], -v[64:65]
	v_fma_f64 v[88:89], v[104:105], s[6:7], v[88:89]
	v_fma_f64 v[92:93], v[160:161], s[6:7], v[92:93]
	v_add_f64_e32 v[16:17], v[24:25], v[16:17]
	v_fma_f64 v[166:167], v[22:23], s[6:7], v[166:167]
	v_add_f64_e32 v[0:1], v[120:121], v[0:1]
	v_add_f64_e64 v[120:121], v[74:75], -v[10:11]
	v_fma_f64 v[168:169], v[8:9], s[12:13], v[80:81]
	v_fma_f64 v[80:81], v[8:9], s[14:15], v[80:81]
	v_add_f64_e32 v[114:115], v[40:41], v[114:115]
	v_add_f64_e64 v[40:41], v[40:41], -v[36:37]
	v_add_f64_e32 v[70:71], v[70:71], v[212:213]
	v_fma_f64 v[112:113], v[61:62], s[6:7], v[112:113]
	v_fma_f64 v[212:213], v[242:243], s[12:13], v[190:191]
	v_add_f64_e32 v[12:13], v[46:47], v[136:137]
	v_add_f64_e32 v[136:137], v[224:225], v[2:3]
	v_add_f64_e64 v[224:225], v[6:7], -v[10:11]
	v_add_f64_e32 v[2:3], v[102:103], v[66:67]
	v_fma_f64 v[66:67], v[106:107], s[14:15], v[118:119]
	v_add_f64_e64 v[46:47], v[46:47], -v[94:95]
	v_fma_f64 v[102:103], v[104:105], s[12:13], v[150:151]
	v_fma_f64 v[132:133], v[61:62], s[2:3], v[132:133]
	v_add_f64_e32 v[0:1], v[0:1], v[44:45]
	v_fma_f64 v[44:45], v[106:107], s[12:13], v[118:119]
	v_add_f64_e32 v[98:99], v[98:99], v[120:121]
	v_add_f64_e32 v[120:121], v[6:7], v[186:187]
	v_fma_f64 v[186:187], v[235:236], s[14:15], v[57:58]
	v_fma_f64 v[56:57], v[235:236], s[12:13], v[57:58]
	v_fma_f64 v[118:119], v[104:105], s[14:15], v[150:151]
	v_add_f64_e32 v[6:7], v[174:175], v[164:165]
	v_fma_f64 v[150:151], v[144:145], s[12:13], v[176:177]
	v_fma_f64 v[164:165], v[160:161], s[12:13], v[116:117]
	v_fma_f64 v[116:117], v[160:161], s[14:15], v[116:117]
	;; [unrolled: 4-line block ×3, first 2 shown]
	v_fma_f64 v[80:81], v[235:236], s[6:7], v[80:81]
	v_fma_f64 v[235:236], v[106:107], s[6:7], v[244:245]
	;; [unrolled: 1-line block ×8, first 2 shown]
	v_add_f64_e32 v[94:95], v[94:95], v[12:13]
	v_fma_f64 v[12:13], v[61:62], s[12:13], v[146:147]
	v_fma_f64 v[220:221], v[224:225], s[12:13], v[84:85]
	;; [unrolled: 1-line block ×16, first 2 shown]
	v_add_f64_e32 v[120:121], v[120:121], v[10:11]
	v_fma_f64 v[56:57], v[8:9], s[6:7], v[56:57]
	v_fma_f64 v[118:119], v[34:35], s[6:7], v[118:119]
	;; [unrolled: 1-line block ×15, first 2 shown]
	v_add_f64_e32 v[10:11], v[86:87], v[162:163]
	v_add_f64_e32 v[8:9], v[36:37], v[28:29]
	v_fma_f64 v[86:87], v[54:55], s[6:7], v[122:123]
	v_fma_f64 v[190:191], v[46:47], s[12:13], v[196:197]
	;; [unrolled: 1-line block ×7, first 2 shown]
	v_add_f64_e32 v[22:23], v[72:73], v[70:71]
	v_fma_f64 v[162:163], v[158:159], s[6:7], v[12:13]
	v_fma_f64 v[146:147], v[158:159], s[2:3], v[146:147]
	v_add_f64_e32 v[12:13], v[26:27], v[18:19]
	v_add_f64_e32 v[18:19], v[64:65], v[94:95]
	v_fma_f64 v[172:173], v[52:53], s[2:3], v[172:173]
	v_fma_f64 v[156:157], v[14:15], s[6:7], v[156:157]
	;; [unrolled: 1-line block ×9, first 2 shown]
	v_add_f64_e32 v[14:15], v[78:79], v[126:127]
	v_fma_f64 v[126:127], v[48:49], s[6:7], v[30:31]
	v_fma_f64 v[30:31], v[76:77], s[16:17], v[80:81]
	;; [unrolled: 1-line block ×8, first 2 shown]
	v_add_f64_e32 v[20:21], v[120:121], v[74:75]
	v_fma_f64 v[74:75], v[140:141], s[16:17], v[118:119]
	v_fma_f64 v[198:199], v[90:91], s[6:7], v[32:33]
	;; [unrolled: 1-line block ×18, first 2 shown]
	v_mov_b32_e32 v216, v226
	v_mov_b32_e32 v220, v241
	v_fma_f64 v[84:85], v[200:201], s[16:17], v[112:113]
	v_fma_f64 v[112:113], v[233:234], s[16:17], v[172:173]
	;; [unrolled: 1-line block ×8, first 2 shown]
	s_wait_loadcnt 0x0
	v_mad_co_u64_u32 v[192:193], null, s8, v214, 0
	v_fma_f64 v[100:101], v[229:230], s[16:17], v[126:127]
	v_fma_f64 v[66:67], v[140:141], s[16:17], v[102:103]
	;; [unrolled: 1-line block ×14, first 2 shown]
	s_clause 0x5
	global_store_b128 v[182:183], v[20:23], off
	global_store_b128 v[130:131], v[56:59], off
	;; [unrolled: 1-line block ×6, first 2 shown]
	v_lshlrev_b64_e32 v[16:17], 4, v[38:39]
	s_clause 0x1
	scratch_load_b32 v39, off, off offset:52 th:TH_LOAD_LU
	scratch_load_b32 v41, off, off offset:44 th:TH_LOAD_LU
	v_fma_f64 v[68:69], v[202:203], s[16:17], v[158:159]
	v_fma_f64 v[120:121], v[128:129], s[16:17], v[190:191]
	;; [unrolled: 1-line block ×3, first 2 shown]
	v_lshlrev_b64_e32 v[21:22], 4, v[215:216]
	v_mov_b32_e32 v20, v193
	v_lshlrev_b64_e32 v[18:19], 4, v[219:220]
	v_add_co_u32 v16, vcc_lo, v42, v16
	s_wait_alu 0xfffd
	v_add_co_ci_u32_e32 v17, vcc_lo, v43, v17, vcc_lo
	v_mad_co_u64_u32 v[36:37], null, s9, v214, v[20:21]
	s_delay_alu instid0(VALU_DEP_4) | instskip(SKIP_3) | instid1(VALU_DEP_4)
	v_add_co_u32 v18, vcc_lo, v42, v18
	s_wait_alu 0xfffd
	v_add_co_ci_u32_e32 v19, vcc_lo, v43, v19, vcc_lo
	v_add_co_u32 v20, vcc_lo, v42, v21
	v_mov_b32_e32 v193, v36
	s_wait_alu 0xfffd
	v_add_co_ci_u32_e32 v21, vcc_lo, v43, v22, vcc_lo
	v_fma_f64 v[92:93], v[204:205], s[16:17], v[162:163]
	v_fma_f64 v[72:73], v[170:171], s[16:17], v[150:151]
	;; [unrolled: 1-line block ×5, first 2 shown]
	s_clause 0x3
	global_store_b128 v[148:149], v[68:71], off
	global_store_b128 v[16:17], v[120:123], off
	;; [unrolled: 1-line block ×4, first 2 shown]
	v_lshlrev_b64_e32 v[17:18], 4, v[192:193]
	scratch_load_b32 v36, off, off offset:40 th:TH_LOAD_LU ; 4-byte Folded Reload
	s_wait_loadcnt 0x2
	v_mad_co_u64_u32 v[37:38], null, s8, v39, 0
	s_wait_loadcnt 0x1
	v_mad_co_u64_u32 v[22:23], null, s8, v41, 0
	s_delay_alu instid0(VALU_DEP_2) | instskip(NEXT) | instid1(VALU_DEP_1)
	v_mov_b32_e32 v16, v38
	v_mad_co_u64_u32 v[19:20], null, s9, v39, v[16:17]
	s_delay_alu instid0(VALU_DEP_3)
	v_mov_b32_e32 v16, v23
	scratch_load_b32 v23, off, off offset:36 th:TH_LOAD_LU ; 4-byte Folded Reload
	v_add_co_u32 v17, vcc_lo, v42, v17
	s_wait_alu 0xfffd
	v_add_co_ci_u32_e32 v18, vcc_lo, v43, v18, vcc_lo
	v_mov_b32_e32 v38, v19
	s_delay_alu instid0(VALU_DEP_3)
	v_mad_co_u64_u32 v[48:49], null, s9, v41, v[16:17]
	global_store_b128 v[17:18], v[12:15], off
	v_lshlrev_b64_e32 v[13:14], 4, v[37:38]
	scratch_load_b32 v38, off, off offset:28 th:TH_LOAD_LU ; 4-byte Folded Reload
	s_wait_loadcnt 0x2
	v_mad_co_u64_u32 v[39:40], null, s8, v36, 0
	s_delay_alu instid0(VALU_DEP_1) | instskip(SKIP_2) | instid1(VALU_DEP_1)
	v_mov_b32_e32 v12, v40
	s_wait_loadcnt 0x1
	v_mad_co_u64_u32 v[20:21], null, s8, v23, 0
	v_mov_b32_e32 v16, v21
	s_delay_alu instid0(VALU_DEP_1)
	v_mad_co_u64_u32 v[15:16], null, s9, v23, v[16:17]
	v_mad_co_u64_u32 v[16:17], null, s9, v36, v[12:13]
	scratch_load_b32 v36, off, off offset:24 th:TH_LOAD_LU ; 4-byte Folded Reload
	v_mov_b32_e32 v23, v48
	v_add_co_u32 v12, vcc_lo, v42, v13
	v_mov_b32_e32 v21, v15
	s_wait_alu 0xfffd
	v_add_co_ci_u32_e32 v13, vcc_lo, v43, v14, vcc_lo
	v_lshlrev_b64_e32 v[17:18], 4, v[22:23]
	v_mov_b32_e32 v40, v16
	s_delay_alu instid0(VALU_DEP_2) | instskip(SKIP_1) | instid1(VALU_DEP_3)
	v_add_co_u32 v16, vcc_lo, v42, v17
	s_wait_alu 0xfffd
	v_add_co_ci_u32_e32 v17, vcc_lo, v43, v18, vcc_lo
	v_lshlrev_b64_e32 v[18:19], 4, v[20:21]
	v_lshlrev_b64_e32 v[20:21], 4, v[39:40]
	scratch_load_b32 v40, off, off offset:32 th:TH_LOAD_LU ; 4-byte Folded Reload
	s_wait_loadcnt 0x2
	v_mad_co_u64_u32 v[22:23], null, s8, v38, 0
	v_add_co_u32 v18, vcc_lo, v42, v18
	s_wait_alu 0xfffd
	v_add_co_ci_u32_e32 v19, vcc_lo, v43, v19, vcc_lo
	v_add_co_u32 v20, vcc_lo, v42, v20
	s_wait_alu 0xfffd
	v_add_co_ci_u32_e32 v21, vcc_lo, v43, v21, vcc_lo
	s_clause 0x3
	global_store_b128 v[12:13], v[112:115], off
	global_store_b128 v[16:17], v[104:107], off
	;; [unrolled: 1-line block ×4, first 2 shown]
	s_wait_loadcnt 0x1
	v_mad_co_u64_u32 v[14:15], null, s8, v36, 0
	s_delay_alu instid0(VALU_DEP_1) | instskip(SKIP_1) | instid1(VALU_DEP_1)
	v_mad_co_u64_u32 v[36:37], null, s9, v36, v[15:16]
	v_mov_b32_e32 v15, v23
	v_mad_co_u64_u32 v[37:38], null, s9, v38, v[15:16]
	s_delay_alu instid0(VALU_DEP_3) | instskip(SKIP_2) | instid1(VALU_DEP_2)
	v_mov_b32_e32 v15, v36
	s_wait_loadcnt 0x0
	v_mad_co_u64_u32 v[38:39], null, s8, v40, 0
	v_lshlrev_b64_e32 v[12:13], 4, v[14:15]
	s_delay_alu instid0(VALU_DEP_4)
	v_mov_b32_e32 v23, v37
	scratch_load_b32 v37, off, off offset:12 th:TH_LOAD_LU ; 4-byte Folded Reload
	v_mov_b32_e32 v14, v39
	scratch_load_b32 v39, off, off offset:16 th:TH_LOAD_LU ; 4-byte Folded Reload
	v_lshlrev_b64_e32 v[17:18], 4, v[22:23]
	v_add_co_u32 v12, vcc_lo, v42, v12
	s_wait_alu 0xfffd
	v_add_co_ci_u32_e32 v13, vcc_lo, v43, v13, vcc_lo
	s_wait_loadcnt 0x1
	v_mul_hi_u32 v36, 0x57619f1, v37
	s_wait_loadcnt 0x0
	v_mad_co_u64_u32 v[15:16], null, s8, v39, 0
	s_delay_alu instid0(VALU_DEP_1)
	v_mad_co_u64_u32 v[19:20], null, s9, v40, v[14:15]
	scratch_load_b32 v40, off, off offset:20 th:TH_LOAD_LU ; 4-byte Folded Reload
	v_mov_b32_e32 v14, v16
	v_add_co_u32 v16, vcc_lo, v42, v17
	s_wait_alu 0xfffd
	v_add_co_ci_u32_e32 v17, vcc_lo, v43, v18, vcc_lo
	s_delay_alu instid0(VALU_DEP_3)
	v_mad_co_u64_u32 v[22:23], null, s9, v39, v[14:15]
	v_mov_b32_e32 v39, v19
	v_lshrrev_b32_e32 v14, 4, v36
	s_clause 0x1
	global_store_b128 v[12:13], v[8:11], off
	global_store_b128 v[16:17], v[96:99], off
	v_lshlrev_b64_e32 v[9:10], 4, v[38:39]
	v_mad_u32_u24 v23, 0xbb8, v14, v37
	v_mov_b32_e32 v16, v22
	s_delay_alu instid0(VALU_DEP_2) | instskip(NEXT) | instid1(VALU_DEP_2)
	v_add_nc_u32_e32 v22, 0x2ee, v23
	v_lshlrev_b64_e32 v[14:15], 4, v[15:16]
	s_delay_alu instid0(VALU_DEP_2) | instskip(SKIP_2) | instid1(VALU_DEP_1)
	v_mad_co_u64_u32 v[16:17], null, s8, v22, 0
	s_wait_loadcnt 0x0
	v_mad_co_u64_u32 v[20:21], null, s8, v40, 0
	v_mov_b32_e32 v8, v21
	s_delay_alu instid0(VALU_DEP_1) | instskip(SKIP_4) | instid1(VALU_DEP_3)
	v_mad_co_u64_u32 v[11:12], null, s9, v40, v[8:9]
	v_mad_co_u64_u32 v[12:13], null, s8, v23, 0
	v_add_co_u32 v8, vcc_lo, v42, v9
	s_wait_alu 0xfffd
	v_add_co_ci_u32_e32 v9, vcc_lo, v43, v10, vcc_lo
	v_dual_mov_b32 v21, v11 :: v_dual_mov_b32 v10, v13
	v_add_co_u32 v13, vcc_lo, v42, v14
	s_delay_alu instid0(VALU_DEP_2)
	v_lshlrev_b64_e32 v[18:19], 4, v[20:21]
	s_wait_alu 0xfffd
	v_add_co_ci_u32_e32 v14, vcc_lo, v43, v15, vcc_lo
	v_mad_co_u64_u32 v[10:11], null, s9, v23, v[10:11]
	s_clause 0x1
	global_store_b128 v[8:9], v[88:91], off
	global_store_b128 v[13:14], v[84:87], off
	v_mov_b32_e32 v8, v17
	v_add_co_u32 v14, vcc_lo, v42, v18
	v_add_nc_u32_e32 v18, 0x5dc, v23
	s_wait_alu 0xfffd
	v_add_co_ci_u32_e32 v15, vcc_lo, v43, v19, vcc_lo
	v_mov_b32_e32 v13, v10
	v_add_nc_u32_e32 v19, 0x8ca, v23
	v_mad_co_u64_u32 v[8:9], null, s9, v22, v[8:9]
	global_store_b128 v[14:15], v[92:95], off
	v_lshlrev_b64_e32 v[9:10], 4, v[12:13]
	v_mad_co_u64_u32 v[11:12], null, s8, v18, 0
	v_mad_co_u64_u32 v[13:14], null, s8, v19, 0
	v_mov_b32_e32 v17, v8
	s_delay_alu instid0(VALU_DEP_4)
	v_add_co_u32 v8, vcc_lo, v42, v9
	s_wait_alu 0xfffd
	v_add_co_ci_u32_e32 v9, vcc_lo, v43, v10, vcc_lo
	v_mov_b32_e32 v10, v12
	v_mov_b32_e32 v12, v14
	v_lshlrev_b64_e32 v[15:16], 4, v[16:17]
	v_add_nc_u32_e32 v21, 0xbb8, v23
	global_store_b128 v[8:9], v[4:7], off
	v_mad_co_u64_u32 v[17:18], null, s9, v18, v[10:11]
	v_mad_co_u64_u32 v[18:19], null, s9, v19, v[12:13]
	;; [unrolled: 1-line block ×3, first 2 shown]
	v_add_co_u32 v15, vcc_lo, v42, v15
	s_delay_alu instid0(VALU_DEP_4)
	v_mov_b32_e32 v12, v17
	s_wait_alu 0xfffd
	v_add_co_ci_u32_e32 v16, vcc_lo, v43, v16, vcc_lo
	v_mov_b32_e32 v14, v18
	scratch_load_b32 v18, off, off offset:8 th:TH_LOAD_LU ; 4-byte Folded Reload
	v_lshlrev_b64_e32 v[5:6], 4, v[11:12]
	v_mov_b32_e32 v4, v20
	global_store_b128 v[15:16], v[80:83], off
	v_lshlrev_b64_e32 v[7:8], 4, v[13:14]
	v_mad_co_u64_u32 v[9:10], null, s9, v21, v[4:5]
	v_add_co_u32 v4, vcc_lo, v42, v5
	s_wait_alu 0xfffd
	v_add_co_ci_u32_e32 v5, vcc_lo, v43, v6, vcc_lo
	s_delay_alu instid0(VALU_DEP_4)
	v_add_co_u32 v6, vcc_lo, v42, v7
	s_wait_alu 0xfffd
	v_add_co_ci_u32_e32 v7, vcc_lo, v43, v8, vcc_lo
	v_mov_b32_e32 v20, v9
	s_clause 0x1
	global_store_b128 v[4:5], v[72:75], off
	global_store_b128 v[6:7], v[64:67], off
	v_lshlrev_b64_e32 v[4:5], 4, v[19:20]
	s_delay_alu instid0(VALU_DEP_1) | instskip(SKIP_1) | instid1(VALU_DEP_2)
	v_add_co_u32 v4, vcc_lo, v42, v4
	s_wait_alu 0xfffd
	v_add_co_ci_u32_e32 v5, vcc_lo, v43, v5, vcc_lo
	global_store_b128 v[4:5], v[76:79], off
	s_wait_loadcnt 0x0
	v_mul_hi_u32 v17, 0x57619f1, v18
	s_delay_alu instid0(VALU_DEP_1) | instskip(NEXT) | instid1(VALU_DEP_1)
	v_lshrrev_b32_e32 v10, 4, v17
	v_mad_u32_u24 v16, 0xbb8, v10, v18
	s_delay_alu instid0(VALU_DEP_1) | instskip(SKIP_3) | instid1(VALU_DEP_4)
	v_add_nc_u32_e32 v17, 0x5dc, v16
	v_add_nc_u32_e32 v14, 0x2ee, v16
	v_mad_co_u64_u32 v[8:9], null, s8, v16, 0
	v_add_nc_u32_e32 v19, 0x8ca, v16
	v_mad_co_u64_u32 v[10:11], null, s8, v17, 0
	s_delay_alu instid0(VALU_DEP_4) | instskip(SKIP_1) | instid1(VALU_DEP_3)
	v_mad_co_u64_u32 v[6:7], null, s8, v14, 0
	v_add_nc_u32_e32 v20, 0xbb8, v16
	v_mad_co_u64_u32 v[12:13], null, s9, v16, v[9:10]
	s_delay_alu instid0(VALU_DEP_3) | instskip(SKIP_2) | instid1(VALU_DEP_4)
	v_mad_co_u64_u32 v[13:14], null, s9, v14, v[7:8]
	v_mov_b32_e32 v7, v11
	v_mad_co_u64_u32 v[14:15], null, s8, v19, 0
	v_mov_b32_e32 v9, v12
	s_delay_alu instid0(VALU_DEP_3) | instskip(SKIP_1) | instid1(VALU_DEP_4)
	v_mad_co_u64_u32 v[16:17], null, s9, v17, v[7:8]
	v_mad_co_u64_u32 v[17:18], null, s8, v20, 0
	v_dual_mov_b32 v4, v15 :: v_dual_mov_b32 v7, v13
	s_delay_alu instid0(VALU_DEP_4) | instskip(NEXT) | instid1(VALU_DEP_4)
	v_lshlrev_b64_e32 v[8:9], 4, v[8:9]
	v_mov_b32_e32 v11, v16
	s_delay_alu instid0(VALU_DEP_3) | instskip(NEXT) | instid1(VALU_DEP_4)
	v_mad_co_u64_u32 v[4:5], null, s9, v19, v[4:5]
	v_lshlrev_b64_e32 v[6:7], 4, v[6:7]
	v_mov_b32_e32 v5, v18
	v_add_co_u32 v8, vcc_lo, v42, v8
	s_wait_alu 0xfffd
	v_add_co_ci_u32_e32 v9, vcc_lo, v43, v9, vcc_lo
	v_mov_b32_e32 v15, v4
	v_mad_co_u64_u32 v[12:13], null, s9, v20, v[5:6]
	v_lshlrev_b64_e32 v[10:11], 4, v[10:11]
	v_add_co_u32 v4, vcc_lo, v42, v6
	s_wait_alu 0xfffd
	v_add_co_ci_u32_e32 v5, vcc_lo, v43, v7, vcc_lo
	v_lshlrev_b64_e32 v[6:7], 4, v[14:15]
	v_mov_b32_e32 v18, v12
	v_add_co_u32 v10, vcc_lo, v42, v10
	s_wait_alu 0xfffd
	v_add_co_ci_u32_e32 v11, vcc_lo, v43, v11, vcc_lo
	s_delay_alu instid0(VALU_DEP_3) | instskip(SKIP_3) | instid1(VALU_DEP_3)
	v_lshlrev_b64_e32 v[12:13], 4, v[17:18]
	v_add_co_u32 v6, vcc_lo, v42, v6
	s_wait_alu 0xfffd
	v_add_co_ci_u32_e32 v7, vcc_lo, v43, v7, vcc_lo
	v_add_co_u32 v12, vcc_lo, v42, v12
	s_wait_alu 0xfffd
	v_add_co_ci_u32_e32 v13, vcc_lo, v43, v13, vcc_lo
	s_clause 0x4
	global_store_b128 v[8:9], v[0:3], off
	global_store_b128 v[4:5], v[44:47], off
	;; [unrolled: 1-line block ×5, first 2 shown]
.LBB0_15:
	s_nop 0
	s_sendmsg sendmsg(MSG_DEALLOC_VGPRS)
	s_endpgm
	.section	.rodata,"a",@progbits
	.p2align	6, 0x0
	.amdhsa_kernel fft_rtc_back_len3750_factors_3_5_5_10_5_wgs_125_tpt_125_halfLds_dp_ip_CI_sbrr_dirReg
		.amdhsa_group_segment_fixed_size 0
		.amdhsa_private_segment_fixed_size 88
		.amdhsa_kernarg_size 88
		.amdhsa_user_sgpr_count 2
		.amdhsa_user_sgpr_dispatch_ptr 0
		.amdhsa_user_sgpr_queue_ptr 0
		.amdhsa_user_sgpr_kernarg_segment_ptr 1
		.amdhsa_user_sgpr_dispatch_id 0
		.amdhsa_user_sgpr_private_segment_size 0
		.amdhsa_wavefront_size32 1
		.amdhsa_uses_dynamic_stack 0
		.amdhsa_enable_private_segment 1
		.amdhsa_system_sgpr_workgroup_id_x 1
		.amdhsa_system_sgpr_workgroup_id_y 0
		.amdhsa_system_sgpr_workgroup_id_z 0
		.amdhsa_system_sgpr_workgroup_info 0
		.amdhsa_system_vgpr_workitem_id 0
		.amdhsa_next_free_vgpr 256
		.amdhsa_next_free_sgpr 35
		.amdhsa_reserve_vcc 1
		.amdhsa_float_round_mode_32 0
		.amdhsa_float_round_mode_16_64 0
		.amdhsa_float_denorm_mode_32 3
		.amdhsa_float_denorm_mode_16_64 3
		.amdhsa_fp16_overflow 0
		.amdhsa_workgroup_processor_mode 1
		.amdhsa_memory_ordered 1
		.amdhsa_forward_progress 0
		.amdhsa_round_robin_scheduling 0
		.amdhsa_exception_fp_ieee_invalid_op 0
		.amdhsa_exception_fp_denorm_src 0
		.amdhsa_exception_fp_ieee_div_zero 0
		.amdhsa_exception_fp_ieee_overflow 0
		.amdhsa_exception_fp_ieee_underflow 0
		.amdhsa_exception_fp_ieee_inexact 0
		.amdhsa_exception_int_div_zero 0
	.end_amdhsa_kernel
	.text
.Lfunc_end0:
	.size	fft_rtc_back_len3750_factors_3_5_5_10_5_wgs_125_tpt_125_halfLds_dp_ip_CI_sbrr_dirReg, .Lfunc_end0-fft_rtc_back_len3750_factors_3_5_5_10_5_wgs_125_tpt_125_halfLds_dp_ip_CI_sbrr_dirReg
                                        ; -- End function
	.section	.AMDGPU.csdata,"",@progbits
; Kernel info:
; codeLenInByte = 25872
; NumSgprs: 37
; NumVgprs: 256
; ScratchSize: 88
; MemoryBound: 1
; FloatMode: 240
; IeeeMode: 1
; LDSByteSize: 0 bytes/workgroup (compile time only)
; SGPRBlocks: 4
; VGPRBlocks: 31
; NumSGPRsForWavesPerEU: 37
; NumVGPRsForWavesPerEU: 256
; Occupancy: 5
; WaveLimiterHint : 1
; COMPUTE_PGM_RSRC2:SCRATCH_EN: 1
; COMPUTE_PGM_RSRC2:USER_SGPR: 2
; COMPUTE_PGM_RSRC2:TRAP_HANDLER: 0
; COMPUTE_PGM_RSRC2:TGID_X_EN: 1
; COMPUTE_PGM_RSRC2:TGID_Y_EN: 0
; COMPUTE_PGM_RSRC2:TGID_Z_EN: 0
; COMPUTE_PGM_RSRC2:TIDIG_COMP_CNT: 0
	.text
	.p2alignl 7, 3214868480
	.fill 96, 4, 3214868480
	.type	__hip_cuid_80f7eda9d69be6c,@object ; @__hip_cuid_80f7eda9d69be6c
	.section	.bss,"aw",@nobits
	.globl	__hip_cuid_80f7eda9d69be6c
__hip_cuid_80f7eda9d69be6c:
	.byte	0                               ; 0x0
	.size	__hip_cuid_80f7eda9d69be6c, 1

	.ident	"AMD clang version 19.0.0git (https://github.com/RadeonOpenCompute/llvm-project roc-6.4.0 25133 c7fe45cf4b819c5991fe208aaa96edf142730f1d)"
	.section	".note.GNU-stack","",@progbits
	.addrsig
	.addrsig_sym __hip_cuid_80f7eda9d69be6c
	.amdgpu_metadata
---
amdhsa.kernels:
  - .args:
      - .actual_access:  read_only
        .address_space:  global
        .offset:         0
        .size:           8
        .value_kind:     global_buffer
      - .offset:         8
        .size:           8
        .value_kind:     by_value
      - .actual_access:  read_only
        .address_space:  global
        .offset:         16
        .size:           8
        .value_kind:     global_buffer
      - .actual_access:  read_only
        .address_space:  global
        .offset:         24
        .size:           8
        .value_kind:     global_buffer
      - .offset:         32
        .size:           8
        .value_kind:     by_value
      - .actual_access:  read_only
        .address_space:  global
        .offset:         40
        .size:           8
        .value_kind:     global_buffer
      - .actual_access:  read_only
        .address_space:  global
        .offset:         48
        .size:           8
        .value_kind:     global_buffer
      - .offset:         56
        .size:           4
        .value_kind:     by_value
      - .actual_access:  read_only
        .address_space:  global
        .offset:         64
        .size:           8
        .value_kind:     global_buffer
      - .actual_access:  read_only
        .address_space:  global
        .offset:         72
        .size:           8
        .value_kind:     global_buffer
      - .address_space:  global
        .offset:         80
        .size:           8
        .value_kind:     global_buffer
    .group_segment_fixed_size: 0
    .kernarg_segment_align: 8
    .kernarg_segment_size: 88
    .language:       OpenCL C
    .language_version:
      - 2
      - 0
    .max_flat_workgroup_size: 125
    .name:           fft_rtc_back_len3750_factors_3_5_5_10_5_wgs_125_tpt_125_halfLds_dp_ip_CI_sbrr_dirReg
    .private_segment_fixed_size: 88
    .sgpr_count:     37
    .sgpr_spill_count: 0
    .symbol:         fft_rtc_back_len3750_factors_3_5_5_10_5_wgs_125_tpt_125_halfLds_dp_ip_CI_sbrr_dirReg.kd
    .uniform_work_group_size: 1
    .uses_dynamic_stack: false
    .vgpr_count:     256
    .vgpr_spill_count: 21
    .wavefront_size: 32
    .workgroup_processor_mode: 1
amdhsa.target:   amdgcn-amd-amdhsa--gfx1201
amdhsa.version:
  - 1
  - 2
...

	.end_amdgpu_metadata
